;; amdgpu-corpus repo=ROCm/rocFFT kind=compiled arch=gfx1030 opt=O3
	.text
	.amdgcn_target "amdgcn-amd-amdhsa--gfx1030"
	.amdhsa_code_object_version 6
	.protected	fft_rtc_back_len169_factors_13_13_wgs_156_tpt_13_half_ip_CI_sbcc_twdbase8_3step ; -- Begin function fft_rtc_back_len169_factors_13_13_wgs_156_tpt_13_half_ip_CI_sbcc_twdbase8_3step
	.globl	fft_rtc_back_len169_factors_13_13_wgs_156_tpt_13_half_ip_CI_sbcc_twdbase8_3step
	.p2align	8
	.type	fft_rtc_back_len169_factors_13_13_wgs_156_tpt_13_half_ip_CI_sbcc_twdbase8_3step,@function
fft_rtc_back_len169_factors_13_13_wgs_156_tpt_13_half_ip_CI_sbcc_twdbase8_3step: ; @fft_rtc_back_len169_factors_13_13_wgs_156_tpt_13_half_ip_CI_sbcc_twdbase8_3step
; %bb.0:
	s_load_dwordx4 s[12:15], s[4:5], 0x18
	s_mov_b64 s[22:23], 0
	s_waitcnt lgkmcnt(0)
	s_load_dwordx2 s[18:19], s[12:13], 0x8
	s_waitcnt lgkmcnt(0)
	s_add_u32 s0, s18, -1
	s_addc_u32 s1, s19, -1
	s_add_u32 s2, 0, 0x55540000
	s_addc_u32 s3, 0, 0x55
	s_mul_hi_u32 s8, s2, -12
	s_add_i32 s3, s3, 0x15555500
	s_sub_i32 s8, s8, s2
	s_mul_i32 s10, s3, -12
	s_mul_i32 s7, s2, -12
	s_add_i32 s8, s8, s10
	s_mul_hi_u32 s9, s2, s7
	s_mul_i32 s16, s2, s8
	s_mul_hi_u32 s10, s2, s8
	s_mul_hi_u32 s11, s3, s7
	s_mul_i32 s7, s3, s7
	s_add_u32 s9, s9, s16
	s_addc_u32 s10, 0, s10
	s_mul_hi_u32 s17, s3, s8
	s_add_u32 s7, s9, s7
	s_mul_i32 s8, s3, s8
	s_addc_u32 s7, s10, s11
	s_addc_u32 s9, s17, 0
	s_add_u32 s7, s7, s8
	v_add_co_u32 v1, s2, s2, s7
	s_addc_u32 s7, 0, s9
	s_cmp_lg_u32 s2, 0
	s_addc_u32 s2, s3, s7
	v_readfirstlane_b32 s3, v1
	s_mul_i32 s8, s0, s2
	s_mul_hi_u32 s7, s0, s2
	s_mul_hi_u32 s9, s1, s2
	s_mul_i32 s2, s1, s2
	s_mul_hi_u32 s10, s0, s3
	s_mul_hi_u32 s11, s1, s3
	s_mul_i32 s3, s1, s3
	s_add_u32 s8, s10, s8
	s_addc_u32 s7, 0, s7
	s_add_u32 s3, s8, s3
	s_addc_u32 s3, s7, s11
	s_addc_u32 s7, s9, 0
	s_add_u32 s2, s3, s2
	s_addc_u32 s3, 0, s7
	s_mul_i32 s8, s2, 12
	s_add_u32 s7, s2, 1
	v_sub_co_u32 v1, s0, s0, s8
	s_mul_hi_u32 s8, s2, 12
	s_addc_u32 s9, s3, 0
	s_mul_i32 s10, s3, 12
	v_sub_co_u32 v2, s11, v1, 12
	s_add_u32 s16, s2, 2
	s_addc_u32 s17, s3, 0
	s_add_i32 s8, s8, s10
	s_cmp_lg_u32 s0, 0
	v_readfirstlane_b32 s0, v2
	s_subb_u32 s1, s1, s8
	s_cmp_lg_u32 s11, 0
	s_subb_u32 s8, s1, 0
	s_cmp_gt_u32 s0, 11
	s_cselect_b32 s0, -1, 0
	s_cmp_eq_u32 s8, 0
	v_readfirstlane_b32 s8, v1
	s_cselect_b32 s0, s0, -1
	s_cmp_lg_u32 s0, 0
	s_cselect_b32 s0, s16, s7
	s_cselect_b32 s9, s17, s9
	s_cmp_gt_u32 s8, 11
	s_cselect_b32 s7, -1, 0
	s_cmp_eq_u32 s1, 0
	s_cselect_b32 s1, s7, -1
	s_mov_b32 s7, 0
	s_cmp_lg_u32 s1, 0
	s_cselect_b32 s0, s0, s2
	s_cselect_b32 s1, s9, s3
	s_add_u32 s20, s0, 1
	s_addc_u32 s21, s1, 0
	v_cmp_lt_u64_e64 s0, s[6:7], s[20:21]
	s_and_b32 vcc_lo, exec_lo, s0
	s_cbranch_vccnz .LBB0_2
; %bb.1:
	v_cvt_f32_u32_e32 v1, s20
	s_sub_i32 s1, 0, s20
	s_mov_b32 s23, s7
	v_rcp_iflag_f32_e32 v1, v1
	v_mul_f32_e32 v1, 0x4f7ffffe, v1
	v_cvt_u32_f32_e32 v1, v1
	v_readfirstlane_b32 s0, v1
	s_mul_i32 s1, s1, s0
	s_mul_hi_u32 s1, s0, s1
	s_add_i32 s0, s0, s1
	s_mul_hi_u32 s0, s6, s0
	s_mul_i32 s1, s0, s20
	s_add_i32 s2, s0, 1
	s_sub_i32 s1, s6, s1
	s_sub_i32 s3, s1, s20
	s_cmp_ge_u32 s1, s20
	s_cselect_b32 s0, s2, s0
	s_cselect_b32 s1, s3, s1
	s_add_i32 s2, s0, 1
	s_cmp_ge_u32 s1, s20
	s_cselect_b32 s22, s2, s0
.LBB0_2:
	s_load_dwordx4 s[0:3], s[14:15], 0x0
	s_clause 0x2
	s_load_dwordx4 s[8:11], s[4:5], 0x8
	s_load_dwordx2 s[16:17], s[4:5], 0x0
	s_load_dwordx2 s[4:5], s[4:5], 0x58
	s_mul_i32 s24, s22, s21
	s_mul_hi_u32 s25, s22, s20
	s_mul_i32 s26, s22, s20
	s_add_i32 s25, s25, s24
	s_sub_u32 s36, s6, s26
	s_subb_u32 s24, 0, s25
	s_mul_hi_u32 s33, s36, 12
	s_mul_i32 s24, s24, 12
	s_mul_i32 s36, s36, 12
	s_add_i32 s33, s33, s24
	s_waitcnt lgkmcnt(0)
	s_mul_i32 s24, s2, s33
	v_cmp_lt_u64_e64 s26, s[10:11], 3
	s_mul_hi_u32 s25, s2, s36
	s_mul_i32 s38, s2, s36
	s_add_i32 s24, s25, s24
	s_mul_i32 s25, s3, s36
	s_add_i32 s37, s24, s25
	s_and_b32 vcc_lo, exec_lo, s26
	s_cbranch_vccnz .LBB0_12
; %bb.3:
	s_add_u32 s24, s14, 16
	s_addc_u32 s25, s15, 0
	s_add_u32 s12, s12, 16
	s_addc_u32 s13, s13, 0
	s_mov_b64 s[26:27], 2
	s_mov_b32 s28, 0
.LBB0_4:                                ; =>This Inner Loop Header: Depth=1
	s_load_dwordx2 s[30:31], s[12:13], 0x0
	s_waitcnt lgkmcnt(0)
	s_or_b64 s[34:35], s[22:23], s[30:31]
	s_mov_b32 s29, s35
                                        ; implicit-def: $sgpr34_sgpr35
	s_cmp_lg_u64 s[28:29], 0
	s_mov_b32 s29, -1
	s_cbranch_scc0 .LBB0_6
; %bb.5:                                ;   in Loop: Header=BB0_4 Depth=1
	v_cvt_f32_u32_e32 v1, s30
	v_cvt_f32_u32_e32 v2, s31
	s_sub_u32 s35, 0, s30
	s_subb_u32 s39, 0, s31
	v_fmac_f32_e32 v1, 0x4f800000, v2
	v_rcp_f32_e32 v1, v1
	v_mul_f32_e32 v1, 0x5f7ffffc, v1
	v_mul_f32_e32 v2, 0x2f800000, v1
	v_trunc_f32_e32 v2, v2
	v_fmac_f32_e32 v1, 0xcf800000, v2
	v_cvt_u32_f32_e32 v2, v2
	v_cvt_u32_f32_e32 v1, v1
	v_readfirstlane_b32 s29, v2
	v_readfirstlane_b32 s34, v1
	s_mul_i32 s40, s35, s29
	s_mul_hi_u32 s42, s35, s34
	s_mul_i32 s41, s39, s34
	s_add_i32 s40, s42, s40
	s_mul_i32 s43, s35, s34
	s_add_i32 s40, s40, s41
	s_mul_hi_u32 s42, s34, s43
	s_mul_hi_u32 s44, s29, s43
	s_mul_i32 s41, s29, s43
	s_mul_hi_u32 s43, s34, s40
	s_mul_i32 s34, s34, s40
	s_mul_hi_u32 s45, s29, s40
	s_add_u32 s34, s42, s34
	s_addc_u32 s42, 0, s43
	s_add_u32 s34, s34, s41
	s_mul_i32 s40, s29, s40
	s_addc_u32 s34, s42, s44
	s_addc_u32 s41, s45, 0
	s_add_u32 s34, s34, s40
	s_addc_u32 s40, 0, s41
	v_add_co_u32 v1, s34, v1, s34
	s_cmp_lg_u32 s34, 0
	s_addc_u32 s29, s29, s40
	v_readfirstlane_b32 s34, v1
	s_mul_i32 s40, s35, s29
	s_mul_hi_u32 s41, s35, s34
	s_mul_i32 s39, s39, s34
	s_add_i32 s40, s41, s40
	s_mul_i32 s35, s35, s34
	s_add_i32 s40, s40, s39
	s_mul_hi_u32 s41, s29, s35
	s_mul_i32 s42, s29, s35
	s_mul_hi_u32 s35, s34, s35
	s_mul_hi_u32 s43, s34, s40
	s_mul_i32 s34, s34, s40
	s_mul_hi_u32 s39, s29, s40
	s_add_u32 s34, s35, s34
	s_addc_u32 s35, 0, s43
	s_add_u32 s34, s34, s42
	s_mul_i32 s40, s29, s40
	s_addc_u32 s34, s35, s41
	s_addc_u32 s35, s39, 0
	s_add_u32 s34, s34, s40
	s_addc_u32 s35, 0, s35
	v_add_co_u32 v1, s34, v1, s34
	s_cmp_lg_u32 s34, 0
	s_addc_u32 s29, s29, s35
	v_readfirstlane_b32 s34, v1
	s_mul_i32 s39, s22, s29
	s_mul_hi_u32 s35, s22, s29
	s_mul_hi_u32 s40, s23, s29
	s_mul_i32 s29, s23, s29
	s_mul_hi_u32 s41, s22, s34
	s_mul_hi_u32 s42, s23, s34
	s_mul_i32 s34, s23, s34
	s_add_u32 s39, s41, s39
	s_addc_u32 s35, 0, s35
	s_add_u32 s34, s39, s34
	s_addc_u32 s34, s35, s42
	s_addc_u32 s35, s40, 0
	s_add_u32 s34, s34, s29
	s_addc_u32 s35, 0, s35
	s_mul_hi_u32 s29, s30, s34
	s_mul_i32 s40, s30, s35
	s_mul_i32 s41, s30, s34
	s_add_i32 s29, s29, s40
	v_sub_co_u32 v1, s40, s22, s41
	s_mul_i32 s39, s31, s34
	s_add_i32 s29, s29, s39
	v_sub_co_u32 v2, s41, v1, s30
	s_sub_i32 s39, s23, s29
	s_cmp_lg_u32 s40, 0
	s_subb_u32 s39, s39, s31
	s_cmp_lg_u32 s41, 0
	v_readfirstlane_b32 s41, v2
	s_subb_u32 s39, s39, 0
	s_cmp_ge_u32 s39, s31
	s_cselect_b32 s42, -1, 0
	s_cmp_ge_u32 s41, s30
	s_cselect_b32 s41, -1, 0
	s_cmp_eq_u32 s39, s31
	s_cselect_b32 s39, s41, s42
	s_add_u32 s41, s34, 1
	s_addc_u32 s42, s35, 0
	s_add_u32 s43, s34, 2
	s_addc_u32 s44, s35, 0
	s_cmp_lg_u32 s39, 0
	s_cselect_b32 s39, s43, s41
	s_cselect_b32 s41, s44, s42
	s_cmp_lg_u32 s40, 0
	v_readfirstlane_b32 s40, v1
	s_subb_u32 s29, s23, s29
	s_cmp_ge_u32 s29, s31
	s_cselect_b32 s42, -1, 0
	s_cmp_ge_u32 s40, s30
	s_cselect_b32 s40, -1, 0
	s_cmp_eq_u32 s29, s31
	s_cselect_b32 s29, s40, s42
	s_cmp_lg_u32 s29, 0
	s_mov_b32 s29, 0
	s_cselect_b32 s35, s41, s35
	s_cselect_b32 s34, s39, s34
.LBB0_6:                                ;   in Loop: Header=BB0_4 Depth=1
	s_andn2_b32 vcc_lo, exec_lo, s29
	s_cbranch_vccnz .LBB0_8
; %bb.7:                                ;   in Loop: Header=BB0_4 Depth=1
	v_cvt_f32_u32_e32 v1, s30
	s_sub_i32 s34, 0, s30
	v_rcp_iflag_f32_e32 v1, v1
	v_mul_f32_e32 v1, 0x4f7ffffe, v1
	v_cvt_u32_f32_e32 v1, v1
	v_readfirstlane_b32 s29, v1
	s_mul_i32 s34, s34, s29
	s_mul_hi_u32 s34, s29, s34
	s_add_i32 s29, s29, s34
	s_mul_hi_u32 s29, s22, s29
	s_mul_i32 s34, s29, s30
	s_add_i32 s35, s29, 1
	s_sub_i32 s34, s22, s34
	s_sub_i32 s39, s34, s30
	s_cmp_ge_u32 s34, s30
	s_cselect_b32 s29, s35, s29
	s_cselect_b32 s34, s39, s34
	s_add_i32 s35, s29, 1
	s_cmp_ge_u32 s34, s30
	s_cselect_b32 s34, s35, s29
	s_mov_b32 s35, s28
.LBB0_8:                                ;   in Loop: Header=BB0_4 Depth=1
	s_load_dwordx2 s[40:41], s[24:25], 0x0
	s_mul_i32 s21, s30, s21
	s_mul_hi_u32 s29, s30, s20
	s_mul_i32 s39, s31, s20
	s_mul_i32 s31, s34, s31
	s_mul_hi_u32 s42, s34, s30
	s_mul_i32 s43, s35, s30
	s_add_i32 s21, s29, s21
	s_add_i32 s29, s42, s31
	s_mul_i32 s44, s34, s30
	s_add_i32 s21, s21, s39
	s_add_i32 s29, s29, s43
	s_sub_u32 s22, s22, s44
	s_subb_u32 s23, s23, s29
	s_mul_i32 s20, s30, s20
	s_waitcnt lgkmcnt(0)
	s_mul_i32 s23, s40, s23
	s_mul_hi_u32 s29, s40, s22
	s_add_i32 s23, s29, s23
	s_mul_i32 s29, s41, s22
	s_mul_i32 s22, s40, s22
	s_add_i32 s23, s23, s29
	s_add_u32 s38, s22, s38
	s_addc_u32 s37, s23, s37
	s_add_u32 s26, s26, 1
	s_addc_u32 s27, s27, 0
	s_add_u32 s24, s24, 8
	v_cmp_ge_u64_e64 s22, s[26:27], s[10:11]
	s_addc_u32 s25, s25, 0
	s_add_u32 s12, s12, 8
	s_addc_u32 s13, s13, 0
	s_and_b32 vcc_lo, exec_lo, s22
	s_cbranch_vccnz .LBB0_10
; %bb.9:                                ;   in Loop: Header=BB0_4 Depth=1
	s_mov_b64 s[22:23], s[34:35]
	s_branch .LBB0_4
.LBB0_10:
	v_cmp_lt_u64_e64 s7, s[6:7], s[20:21]
	s_mov_b64 s[22:23], 0
	s_and_b32 vcc_lo, exec_lo, s7
	s_cbranch_vccnz .LBB0_12
; %bb.11:
	v_cvt_f32_u32_e32 v1, s20
	s_sub_i32 s12, 0, s20
	v_rcp_iflag_f32_e32 v1, v1
	v_mul_f32_e32 v1, 0x4f7ffffe, v1
	v_cvt_u32_f32_e32 v1, v1
	v_readfirstlane_b32 s7, v1
	s_mul_i32 s12, s12, s7
	s_mul_hi_u32 s12, s7, s12
	s_add_i32 s7, s7, s12
	s_mul_hi_u32 s7, s6, s7
	s_mul_i32 s12, s7, s20
	s_sub_i32 s6, s6, s12
	s_add_i32 s12, s7, 1
	s_sub_i32 s13, s6, s20
	s_cmp_ge_u32 s6, s20
	s_cselect_b32 s7, s12, s7
	s_cselect_b32 s6, s13, s6
	s_add_i32 s12, s7, 1
	s_cmp_ge_u32 s6, s20
	s_cselect_b32 s22, s12, s7
.LBB0_12:
	s_lshl_b64 s[6:7], s[10:11], 3
	v_mul_u32_u24_e32 v1, 0x1556, v0
	s_add_u32 s6, s14, s6
	s_addc_u32 s7, s15, s7
	s_load_dwordx2 s[6:7], s[6:7], 0x0
	v_lshrrev_b32_e32 v16, 16, v1
	v_mul_lo_u16 v1, v16, 12
	v_lshlrev_b32_e32 v17, 2, v16
	v_add_nc_u32_e32 v15, 13, v16
	v_add_nc_u32_e32 v14, 26, v16
	;; [unrolled: 1-line block ×3, first 2 shown]
	v_sub_nc_u16 v1, v0, v1
	v_add_nc_u32_e32 v12, 52, v16
	v_add_nc_u32_e32 v11, 0x41, v16
	;; [unrolled: 1-line block ×4, first 2 shown]
	v_and_b32_e32 v18, 0xffff, v1
	v_add_nc_u32_e32 v8, 0x68, v16
	v_add_nc_u32_e32 v7, 0x75, v16
	;; [unrolled: 1-line block ×3, first 2 shown]
	s_waitcnt lgkmcnt(0)
	s_mul_i32 s7, s7, s22
	s_mul_hi_u32 s10, s6, s22
	s_mul_i32 s6, s6, s22
	v_add_co_u32 v1, s11, s36, v18
	s_add_i32 s10, s10, s7
	v_add_co_ci_u32_e64 v2, null, s33, 0, s11
	s_add_u32 s6, s6, s38
	s_addc_u32 s7, s10, s37
	s_add_u32 s10, s36, 12
	s_addc_u32 s11, s33, 0
	v_cmp_gt_u64_e32 vcc_lo, s[18:19], v[1:2]
	v_cmp_le_u64_e64 s10, s[10:11], s[18:19]
	v_mul_u32_u24_e32 v19, 0x2a4, v18
	v_add_nc_u32_e32 v6, 0x8f, v16
	v_add_nc_u32_e32 v4, 0x9c, v16
	s_or_b32 s10, s10, vcc_lo
	s_and_saveexec_b32 s11, s10
	s_cbranch_execz .LBB0_14
; %bb.13:
	v_mad_u64_u32 v[20:21], null, s0, v16, 0
	v_mad_u64_u32 v[1:2], null, s2, v18, 0
	;; [unrolled: 1-line block ×3, first 2 shown]
	s_lshl_b64 s[12:13], s[6:7], 2
	v_mad_u64_u32 v[33:34], null, s0, v9, 0
	v_mov_b32_e32 v3, v21
	s_add_u32 s12, s4, s12
	s_addc_u32 s13, s5, s13
	v_mad_u64_u32 v[38:39], null, s0, v7, 0
	v_mad_u64_u32 v[24:25], null, s3, v18, v[2:3]
	v_mov_b32_e32 v2, v23
	v_mad_u64_u32 v[25:26], null, s1, v16, v[3:4]
	v_mad_u64_u32 v[26:27], null, s0, v14, 0
	v_mad_u64_u32 v[28:29], null, s1, v15, v[2:3]
	v_mov_b32_e32 v2, v24
	v_mad_u64_u32 v[29:30], null, s0, v13, 0
	v_mov_b32_e32 v21, v25
	v_mov_b32_e32 v3, v27
	v_lshlrev_b64 v[1:2], 2, v[1:2]
	v_mad_u64_u32 v[24:25], null, s0, v12, 0
	v_mov_b32_e32 v23, v28
	v_lshlrev_b64 v[20:21], 2, v[20:21]
	v_mad_u64_u32 v[45:46], null, s0, v4, 0
	v_add_co_u32 v47, vcc_lo, s12, v1
	v_add_co_ci_u32_e32 v48, vcc_lo, s13, v2, vcc_lo
	v_mad_u64_u32 v[1:2], null, s1, v14, v[3:4]
	v_mov_b32_e32 v2, v30
	v_lshlrev_b64 v[22:23], 2, v[22:23]
	v_add_co_u32 v20, vcc_lo, v47, v20
	v_add_co_ci_u32_e32 v21, vcc_lo, v48, v21, vcc_lo
	v_mov_b32_e32 v27, v1
	v_mad_u64_u32 v[1:2], null, s1, v13, v[2:3]
	v_mov_b32_e32 v2, v25
	v_add_co_u32 v22, vcc_lo, v47, v22
	v_lshlrev_b64 v[25:26], 2, v[26:27]
	v_mad_u64_u32 v[27:28], null, s0, v11, 0
	v_mad_u64_u32 v[2:3], null, s1, v12, v[2:3]
	v_add_co_ci_u32_e32 v23, vcc_lo, v48, v23, vcc_lo
	v_add_co_u32 v31, vcc_lo, v47, v25
	v_mov_b32_e32 v30, v1
	v_mov_b32_e32 v1, v28
	;; [unrolled: 1-line block ×3, first 2 shown]
	v_mad_u64_u32 v[2:3], null, s0, v10, 0
	v_lshlrev_b64 v[29:30], 2, v[29:30]
	v_add_co_ci_u32_e32 v32, vcc_lo, v48, v26, vcc_lo
	v_lshlrev_b64 v[24:25], 2, v[24:25]
	v_mad_u64_u32 v[35:36], null, s1, v11, v[1:2]
	v_mov_b32_e32 v1, v3
	v_mov_b32_e32 v3, v34
	v_add_co_u32 v29, vcc_lo, v47, v29
	v_add_co_ci_u32_e32 v30, vcc_lo, v48, v30, vcc_lo
	v_mov_b32_e32 v28, v35
	v_mad_u64_u32 v[34:35], null, s1, v10, v[1:2]
	v_mad_u64_u32 v[35:36], null, s1, v9, v[3:4]
	v_mad_u64_u32 v[36:37], null, s0, v8, 0
	v_lshlrev_b64 v[26:27], 2, v[27:28]
	v_add_co_u32 v24, vcc_lo, v47, v24
	v_mov_b32_e32 v3, v34
	v_mov_b32_e32 v34, v35
	v_add_co_ci_u32_e32 v25, vcc_lo, v48, v25, vcc_lo
	v_add_co_u32 v26, vcc_lo, v47, v26
	v_lshlrev_b64 v[1:2], 2, v[2:3]
	v_mov_b32_e32 v3, v37
	v_lshlrev_b64 v[33:34], 2, v[33:34]
	v_add_co_ci_u32_e32 v27, vcc_lo, v48, v27, vcc_lo
	v_mad_u64_u32 v[40:41], null, s1, v8, v[3:4]
	v_mad_u64_u32 v[41:42], null, s0, v5, 0
	v_mov_b32_e32 v3, v39
	v_add_co_u32 v1, vcc_lo, v47, v1
	v_add_co_ci_u32_e32 v2, vcc_lo, v48, v2, vcc_lo
	v_mov_b32_e32 v37, v40
	v_mov_b32_e32 v28, v42
	v_add_co_u32 v33, vcc_lo, v47, v33
	v_mad_u64_u32 v[39:40], null, s1, v7, v[3:4]
	v_mad_u64_u32 v[42:43], null, s1, v5, v[28:29]
	;; [unrolled: 1-line block ×3, first 2 shown]
	v_add_co_ci_u32_e32 v34, vcc_lo, v48, v34, vcc_lo
	s_clause 0x7
	global_load_dword v28, v[20:21], off
	global_load_dword v35, v[22:23], off
	;; [unrolled: 1-line block ×8, first 2 shown]
	v_lshlrev_b64 v[2:3], 2, v[36:37]
	v_mov_b32_e32 v1, v44
	v_mad_u64_u32 v[20:21], null, s1, v6, v[1:2]
	v_mov_b32_e32 v1, v46
	v_add_co_u32 v2, vcc_lo, v47, v2
	v_lshlrev_b64 v[21:22], 2, v[38:39]
	v_add_co_ci_u32_e32 v3, vcc_lo, v48, v3, vcc_lo
	v_mad_u64_u32 v[23:24], null, s1, v4, v[1:2]
	v_lshlrev_b64 v[24:25], 2, v[41:42]
	v_mov_b32_e32 v44, v20
	v_add_co_u32 v20, vcc_lo, v47, v21
	v_add_co_ci_u32_e32 v21, vcc_lo, v48, v22, vcc_lo
	v_mov_b32_e32 v46, v23
	v_lshlrev_b64 v[26:27], 2, v[43:44]
	v_add_co_u32 v22, vcc_lo, v47, v24
	v_add_co_ci_u32_e32 v23, vcc_lo, v48, v25, vcc_lo
	v_lshlrev_b64 v[24:25], 2, v[45:46]
	v_add_co_u32 v26, vcc_lo, v47, v26
	v_add_co_ci_u32_e32 v27, vcc_lo, v48, v27, vcc_lo
	v_add_co_u32 v24, vcc_lo, v47, v24
	v_add_co_ci_u32_e32 v25, vcc_lo, v48, v25, vcc_lo
	s_clause 0x4
	global_load_dword v1, v[2:3], off
	global_load_dword v2, v[20:21], off
	;; [unrolled: 1-line block ×5, first 2 shown]
	v_add3_u32 v22, 0, v19, v17
	s_waitcnt vmcnt(11)
	ds_write2_b32 v22, v28, v35 offset1:13
	s_waitcnt vmcnt(9)
	ds_write2_b32 v22, v31, v29 offset0:26 offset1:39
	s_waitcnt vmcnt(7)
	ds_write2_b32 v22, v30, v32 offset0:52 offset1:65
	;; [unrolled: 2-line block ×5, first 2 shown]
	s_waitcnt vmcnt(0)
	ds_write_b32 v22, v21 offset:624
.LBB0_14:
	s_or_b32 exec_lo, exec_lo, s11
	s_add_u32 s11, 0, 0x55540000
	s_addc_u32 s12, 0, 0x55
	s_mul_hi_u32 s14, s11, -12
	s_add_i32 s12, s12, 0x15555500
	v_mov_b32_e32 v1, 0x13b2
	s_sub_i32 s14, s14, s11
	s_mul_i32 s18, s12, -12
	s_mul_i32 s13, s11, -12
	s_add_i32 s14, s14, s18
	s_mul_hi_u32 s15, s12, s13
	s_mul_i32 s18, s12, s13
	s_mul_i32 s19, s11, s14
	s_mul_hi_u32 s13, s11, s13
	v_mul_u32_u24_sdwa v1, v0, v1 dst_sel:DWORD dst_unused:UNUSED_PAD src0_sel:WORD_0 src1_sel:DWORD
	s_mul_hi_u32 s20, s11, s14
	s_add_u32 s13, s13, s19
	s_addc_u32 s19, 0, s20
	s_mul_hi_u32 s20, s12, s14
	s_add_u32 s13, s13, s18
	s_addc_u32 s13, s19, s15
	s_mul_i32 s14, s12, s14
	v_lshrrev_b32_e32 v20, 16, v1
	s_addc_u32 s15, s20, 0
	s_add_u32 s13, s13, s14
	s_waitcnt lgkmcnt(0)
	v_add_co_u32 v3, s11, s11, s13
	s_addc_u32 s13, 0, s15
	s_cmp_lg_u32 s11, 0
	v_add_co_u32 v21, s11, s36, v20
	v_add_co_ci_u32_e64 v24, null, s33, 0, s11
	s_addc_u32 s11, s12, s13
	v_mul_hi_u32 v25, v21, v3
	v_mad_u64_u32 v[1:2], null, v21, s11, 0
	v_mad_u64_u32 v[22:23], null, v24, v3, 0
	v_mul_lo_u16 v20, v20, 13
	s_barrier
	buffer_gl0_inv
	v_mov_b32_e32 v49, 0xba95
	v_add_co_u32 v3, vcc_lo, v25, v1
	v_add_co_ci_u32_e32 v25, vcc_lo, 0, v2, vcc_lo
	v_mad_u64_u32 v[1:2], null, v24, s11, 0
	v_add_co_u32 v3, vcc_lo, v3, v22
	v_add_co_ci_u32_e32 v3, vcc_lo, v25, v23, vcc_lo
	v_sub_nc_u16 v0, v0, v20
	v_mov_b32_e32 v27, 0x388b
	v_add_co_ci_u32_e32 v2, vcc_lo, 0, v2, vcc_lo
	v_add_co_u32 v1, vcc_lo, v3, v1
	v_mov_b32_e32 v51, 0xbbf1
	v_add_co_ci_u32_e32 v3, vcc_lo, 0, v2, vcc_lo
	v_mad_u64_u32 v[1:2], null, v1, 12, 0
	v_mov_b32_e32 v50, 0x2fb7
	v_mov_b32_e32 v26, 0xbb7b
	;; [unrolled: 1-line block ×6, first 2 shown]
	v_mad_u64_u32 v[2:3], null, v3, 12, v[2:3]
	v_sub_co_u32 v1, vcc_lo, v21, v1
	v_mov_b32_e32 v28, 0xb9fd
	v_mov_b32_e32 v33, 0xb94e
	v_sub_co_ci_u32_e32 v2, vcc_lo, v24, v2, vcc_lo
	v_sub_co_u32 v3, vcc_lo, v1, 12
	v_subrev_co_ci_u32_e32 v22, vcc_lo, 0, v2, vcc_lo
	v_cmp_lt_u32_e32 vcc_lo, 11, v3
	v_cndmask_b32_e64 v23, 0, -1, vcc_lo
	v_cmp_lt_u32_e32 vcc_lo, 11, v1
	v_cndmask_b32_e64 v24, 0, -1, vcc_lo
	v_cmp_eq_u32_e32 vcc_lo, 0, v22
	v_cndmask_b32_e32 v22, -1, v23, vcc_lo
	v_cmp_eq_u32_e32 vcc_lo, 0, v2
	v_add_nc_u32_e32 v23, -12, v3
	v_cndmask_b32_e32 v2, -1, v24, vcc_lo
	v_cmp_ne_u32_e32 vcc_lo, 0, v22
	v_and_b32_e32 v22, 0xffff, v0
	v_cndmask_b32_e32 v3, v3, v23, vcc_lo
	v_cmp_ne_u32_e32 vcc_lo, 0, v2
	v_add_nc_u32_e32 v90, 0x8f, v22
	v_cndmask_b32_e32 v1, v1, v3, vcc_lo
	v_mul_lo_u32 v90, v21, v90
	v_mul_u32_u24_e32 v1, 0xa9, v1
	v_lshlrev_b32_e32 v0, 2, v1
	v_lshlrev_b32_e32 v1, 2, v22
	v_add_nc_u32_e32 v46, 0, v0
	v_add3_u32 v20, 0, v1, v0
	v_add_nc_u32_e32 v23, v46, v1
	ds_read2_b32 v[38:39], v20 offset0:143 offset1:156
	ds_read2_b32 v[29:30], v20 offset0:13 offset1:26
	ds_read_b32 v24, v23
	ds_read2_b32 v[42:43], v20 offset0:39 offset1:52
	ds_read2_b32 v[0:1], v20 offset0:65 offset1:78
	;; [unrolled: 1-line block ×4, first 2 shown]
	s_waitcnt lgkmcnt(0)
	s_barrier
	buffer_gl0_inv
	v_pk_add_f16 v32, v29, v39 neg_lo:[0,1] neg_hi:[0,1]
	v_pk_add_f16 v37, v39, v29
	v_pk_add_f16 v29, v24, v29
	;; [unrolled: 1-line block ×3, first 2 shown]
	v_pk_add_f16 v31, v30, v38 neg_lo:[0,1] neg_hi:[0,1]
	v_pk_mul_f16 v35, 0xb770, v32 op_sel_hi:[0,1]
	v_mul_f16_sdwa v36, v32, v49 dst_sel:DWORD dst_unused:UNUSED_PAD src0_sel:WORD_1 src1_sel:DWORD
	v_pk_add_f16 v64, v29, v30
	v_mul_f16_sdwa v40, v37, v27 dst_sel:DWORD dst_unused:UNUSED_PAD src0_sel:WORD_1 src1_sel:DWORD
	v_mul_f16_sdwa v41, v32, v51 dst_sel:DWORD dst_unused:UNUSED_PAD src0_sel:WORD_1 src1_sel:DWORD
	v_pk_fma_f16 v29, 0x3b15, v37, v35 op_sel:[0,0,1] op_sel_hi:[0,1,0]
	v_pk_fma_f16 v30, 0x3b15, v37, v35 op_sel:[0,0,1] op_sel_hi:[0,1,0] neg_lo:[0,0,1] neg_hi:[0,0,1]
	v_pk_add_f16 v35, v64, v42
	v_mul_f16_sdwa v53, v37, v50 dst_sel:DWORD dst_unused:UNUSED_PAD src0_sel:WORD_1 src1_sel:DWORD
	v_mul_f16_sdwa v54, v32, v26 dst_sel:DWORD dst_unused:UNUSED_PAD src0_sel:WORD_1 src1_sel:DWORD
	v_pk_mul_f16 v58, 0xba95, v31 op_sel_hi:[0,1]
	v_mul_f16_sdwa v59, v31, v26 dst_sel:DWORD dst_unused:UNUSED_PAD src0_sel:WORD_1 src1_sel:DWORD
	v_pk_add_f16 v73, v35, v43
	v_mul_f16_sdwa v60, v34, v25 dst_sel:DWORD dst_unused:UNUSED_PAD src0_sel:WORD_1 src1_sel:DWORD
	v_mul_f16_sdwa v61, v31, v47 dst_sel:DWORD dst_unused:UNUSED_PAD src0_sel:WORD_1 src1_sel:DWORD
	v_fmamk_f16 v66, v32, 0x3a95, v40
	v_fma_f16 v67, v37, 0x388b, -v36
	v_pk_add_f16 v73, v73, v0
	v_fmac_f16_e32 v40, 0xba95, v32
	v_fmamk_f16 v68, v37, 0x2fb7, v41
	v_mul_f16_sdwa v55, v37, v25 dst_sel:DWORD dst_unused:UNUSED_PAD src0_sel:WORD_1 src1_sel:DWORD
	v_mul_f16_sdwa v62, v34, v48 dst_sel:DWORD dst_unused:UNUSED_PAD src0_sel:WORD_1 src1_sel:DWORD
	v_pk_add_f16 v73, v73, v1
	v_mul_f16_sdwa v63, v31, v52 dst_sel:DWORD dst_unused:UNUSED_PAD src0_sel:WORD_1 src1_sel:DWORD
	v_fmamk_f16 v65, v37, 0x388b, v36
	v_fmamk_f16 v69, v32, 0x3bf1, v53
	v_fma_f16 v41, v37, 0x2fb7, -v41
	v_pk_add_f16 v73, v73, v2
	v_fmamk_f16 v70, v37, 0xb5ac, v54
	v_pk_fma_f16 v35, 0x388b, v34, v58 op_sel:[0,0,1] op_sel_hi:[0,1,0]
	v_pk_fma_f16 v36, 0x388b, v34, v58 op_sel:[0,0,1] op_sel_hi:[0,1,0] neg_lo:[0,0,1] neg_hi:[0,0,1]
	v_fmamk_f16 v58, v34, 0xb5ac, v59
	v_pk_add_f16 v73, v73, v3
	v_fmamk_f16 v74, v31, 0x3b7b, v60
	v_fma_f16 v59, v34, 0xb5ac, -v59
	v_fmac_f16_e32 v60, 0xbb7b, v31
	v_fmamk_f16 v75, v34, 0xbbc4, v61
	v_pk_add_f16 v73, v73, v44
	v_add_f16_e32 v67, v24, v67
	v_add_f16_sdwa v40, v24, v40 dst_sel:DWORD dst_unused:UNUSED_PAD src0_sel:WORD_1 src1_sel:DWORD
	v_add_f16_e32 v68, v24, v68
	v_fmac_f16_e32 v53, 0xbbf1, v32
	v_pk_add_f16 v73, v73, v45
	v_fmamk_f16 v71, v32, 0x3b7b, v55
	v_add_f16_sdwa v69, v24, v69 dst_sel:DWORD dst_unused:UNUSED_PAD src0_sel:WORD_1 src1_sel:DWORD
	v_add_f16_e32 v41, v24, v41
	v_add_f16_e32 v70, v24, v70
	v_pk_add_f16 v38, v73, v38
	v_add_f16_e32 v59, v59, v67
	v_add_f16_e32 v60, v60, v40
	;; [unrolled: 1-line block ×3, first 2 shown]
	v_mul_f16_sdwa v40, v34, v28 dst_sel:DWORD dst_unused:UNUSED_PAD src0_sel:WORD_1 src1_sel:DWORD
	v_pk_add_f16 v38, v38, v39
	v_fmamk_f16 v39, v31, 0x33a8, v62
	v_fma_f16 v61, v34, 0xbbc4, -v61
	v_fmamk_f16 v68, v34, 0xb9fd, v63
	v_mul_f16_sdwa v56, v32, v33 dst_sel:DWORD dst_unused:UNUSED_PAD src0_sel:WORD_1 src1_sel:DWORD
	v_mul_f16_sdwa v57, v37, v28 dst_sel:DWORD dst_unused:UNUSED_PAD src0_sel:WORD_1 src1_sel:DWORD
	v_fma_f16 v54, v37, 0xb5ac, -v54
	v_fmac_f16_e32 v55, 0xbb7b, v32
	v_add_f16_sdwa v53, v24, v53 dst_sel:DWORD dst_unused:UNUSED_PAD src0_sel:WORD_1 src1_sel:DWORD
	v_add_f16_sdwa v71, v24, v71 dst_sel:DWORD dst_unused:UNUSED_PAD src0_sel:WORD_1 src1_sel:DWORD
	v_fmac_f16_e32 v62, 0xb3a8, v31
	v_add_f16_e32 v69, v39, v69
	v_fmamk_f16 v39, v31, 0xb94e, v40
	v_add_f16_e32 v61, v61, v41
	v_add_f16_e32 v68, v68, v70
	v_mov_b32_e32 v70, 0x3bf1
	v_pk_add_f16 v41, v42, v45 neg_lo:[0,1] neg_hi:[0,1]
	v_fmamk_f16 v64, v37, 0xb9fd, v56
	v_fmamk_f16 v72, v32, 0x394e, v57
	v_add_f16_e32 v65, v24, v65
	v_bfi_b32 v76, 0xffff, v29, v30
	v_add_f16_sdwa v66, v24, v66 dst_sel:DWORD dst_unused:UNUSED_PAD src0_sel:WORD_1 src1_sel:DWORD
	v_add_f16_e32 v54, v24, v54
	v_add_f16_sdwa v55, v24, v55 dst_sel:DWORD dst_unused:UNUSED_PAD src0_sel:WORD_1 src1_sel:DWORD
	v_add_f16_e32 v62, v62, v53
	v_add_f16_e32 v71, v39, v71
	v_fma_f16 v39, v34, 0xb9fd, -v63
	v_fmac_f16_e32 v40, 0x394e, v31
	v_mul_f16_sdwa v53, v31, v70 dst_sel:DWORD dst_unused:UNUSED_PAD src0_sel:WORD_1 src1_sel:DWORD
	v_mul_f16_sdwa v63, v34, v50 dst_sel:DWORD dst_unused:UNUSED_PAD src0_sel:WORD_1 src1_sel:DWORD
	v_pk_add_f16 v42, v45, v42
	v_pk_mul_f16 v45, 0xbbf1, v41 op_sel_hi:[0,1]
	v_fma_f16 v56, v37, 0xb9fd, -v56
	v_fmac_f16_e32 v57, 0xb94e, v32
	v_add_f16_e32 v64, v24, v64
	v_add_f16_sdwa v72, v24, v72 dst_sel:DWORD dst_unused:UNUSED_PAD src0_sel:WORD_1 src1_sel:DWORD
	v_bfi_b32 v77, 0xffff, v35, v36
	v_add_f16_e32 v58, v58, v65
	v_add_f16_e32 v65, v74, v66
	v_pk_add_f16 v66, v24, v76
	v_add_f16_e32 v73, v39, v54
	v_fmamk_f16 v54, v34, 0x2fb7, v53
	v_add_f16_e32 v55, v40, v55
	v_fmamk_f16 v74, v31, 0xbbf1, v63
	v_pk_fma_f16 v39, 0x2fb7, v42, v45 op_sel:[0,0,1] op_sel_hi:[0,1,0]
	v_pk_fma_f16 v40, 0x2fb7, v42, v45 op_sel:[0,0,1] op_sel_hi:[0,1,0] neg_lo:[0,0,1] neg_hi:[0,0,1]
	v_add_f16_e32 v56, v24, v56
	v_add_f16_sdwa v57, v24, v57 dst_sel:DWORD dst_unused:UNUSED_PAD src0_sel:WORD_1 src1_sel:DWORD
	v_pk_add_f16 v66, v77, v66
	v_add_f16_e32 v64, v54, v64
	v_fma_f16 v45, v34, 0x2fb7, -v53
	v_add_f16_e32 v72, v74, v72
	v_fmac_f16_e32 v63, 0x3bf1, v31
	v_mul_f16_sdwa v47, v41, v47 dst_sel:DWORD dst_unused:UNUSED_PAD src0_sel:WORD_1 src1_sel:DWORD
	v_bfi_b32 v53, 0xffff, v39, v40
	v_mul_f16_sdwa v74, v42, v48 dst_sel:DWORD dst_unused:UNUSED_PAD src0_sel:WORD_1 src1_sel:DWORD
	v_mov_b32_e32 v54, 0x3b7b
	v_add_f16_e32 v56, v45, v56
	v_add_f16_e32 v57, v63, v57
	v_fmamk_f16 v45, v42, 0xbbc4, v47
	v_fmamk_f16 v63, v41, 0x33a8, v74
	v_fma_f16 v47, v42, 0xbbc4, -v47
	v_pk_add_f16 v66, v53, v66
	v_mul_f16_sdwa v75, v41, v54 dst_sel:DWORD dst_unused:UNUSED_PAD src0_sel:WORD_1 src1_sel:DWORD
	v_mov_b32_e32 v53, 0x3770
	v_add_f16_e32 v58, v45, v58
	v_add_f16_e32 v63, v63, v65
	;; [unrolled: 1-line block ×3, first 2 shown]
	v_fmac_f16_e32 v74, 0xb3a8, v41
	v_mul_f16_sdwa v65, v42, v25 dst_sel:DWORD dst_unused:UNUSED_PAD src0_sel:WORD_1 src1_sel:DWORD
	v_fmamk_f16 v76, v42, 0xb5ac, v75
	v_pk_add_f16 v47, v44, v43
	v_pk_add_f16 v45, v43, v44 neg_lo:[0,1] neg_hi:[0,1]
	v_mov_b32_e32 v54, 0x3b15
	v_mul_f16_sdwa v44, v41, v53 dst_sel:DWORD dst_unused:UNUSED_PAD src0_sel:WORD_1 src1_sel:DWORD
	v_fmamk_f16 v43, v41, 0xbb7b, v65
	v_add_f16_e32 v60, v74, v60
	v_add_f16_e32 v67, v76, v67
	v_fma_f16 v74, v42, 0xb5ac, -v75
	v_mul_f16_sdwa v75, v42, v54 dst_sel:DWORD dst_unused:UNUSED_PAD src0_sel:WORD_1 src1_sel:DWORD
	v_fmac_f16_e32 v65, 0x3b7b, v41
	v_fmamk_f16 v76, v42, 0x3b15, v44
	v_add_f16_e32 v69, v43, v69
	v_add_f16_e32 v61, v74, v61
	v_fmamk_f16 v43, v41, 0xb770, v75
	v_add_f16_e32 v62, v65, v62
	v_add_f16_e32 v65, v76, v68
	v_mul_f16_sdwa v68, v41, v49 dst_sel:DWORD dst_unused:UNUSED_PAD src0_sel:WORD_1 src1_sel:DWORD
	v_fmac_f16_e32 v75, 0x3770, v41
	v_mul_f16_sdwa v74, v42, v27 dst_sel:DWORD dst_unused:UNUSED_PAD src0_sel:WORD_1 src1_sel:DWORD
	v_fma_f16 v44, v42, 0x3b15, -v44
	v_add_f16_e32 v71, v43, v71
	v_fmamk_f16 v43, v42, 0x388b, v68
	v_pk_mul_f16 v76, 0xbb7b, v45 op_sel_hi:[0,1]
	v_add_f16_e32 v75, v75, v55
	v_fmamk_f16 v55, v41, 0x3a95, v74
	v_fmac_f16_e32 v74, 0xba95, v41
	v_mul_f16_sdwa v52, v45, v52 dst_sel:DWORD dst_unused:UNUSED_PAD src0_sel:WORD_1 src1_sel:DWORD
	v_add_f16_e32 v73, v44, v73
	v_add_f16_e32 v64, v43, v64
	v_pk_fma_f16 v43, 0xb5ac, v47, v76 op_sel:[0,0,1] op_sel_hi:[0,1,0]
	v_pk_fma_f16 v44, 0xb5ac, v47, v76 op_sel:[0,0,1] op_sel_hi:[0,1,0] neg_lo:[0,0,1] neg_hi:[0,0,1]
	v_fma_f16 v68, v42, 0x388b, -v68
	v_add_f16_e32 v57, v74, v57
	v_fmamk_f16 v74, v47, 0xb9fd, v52
	v_fma_f16 v52, v47, 0xb9fd, -v52
	v_mul_f16_sdwa v77, v47, v54 dst_sel:DWORD dst_unused:UNUSED_PAD src0_sel:WORD_1 src1_sel:DWORD
	v_add_f16_e32 v72, v55, v72
	v_bfi_b32 v55, 0xffff, v43, v44
	v_add_f16_e32 v56, v68, v56
	v_mul_f16_sdwa v68, v47, v28 dst_sel:DWORD dst_unused:UNUSED_PAD src0_sel:WORD_1 src1_sel:DWORD
	v_add_f16_e32 v59, v52, v59
	v_fmamk_f16 v52, v45, 0xb770, v77
	v_mul_f16_sdwa v51, v45, v51 dst_sel:DWORD dst_unused:UNUSED_PAD src0_sel:WORD_1 src1_sel:DWORD
	v_pk_add_f16 v66, v55, v66
	v_mul_f16_sdwa v55, v45, v53 dst_sel:DWORD dst_unused:UNUSED_PAD src0_sel:WORD_1 src1_sel:DWORD
	v_fmamk_f16 v76, v45, 0xb94e, v68
	v_fmac_f16_e32 v68, 0x394e, v45
	v_add_f16_e32 v69, v52, v69
	v_fmamk_f16 v52, v47, 0x2fb7, v51
	v_add_f16_e32 v58, v74, v58
	v_fmamk_f16 v74, v47, 0x3b15, v55
	v_add_f16_e32 v60, v68, v60
	v_mul_f16_sdwa v68, v47, v50 dst_sel:DWORD dst_unused:UNUSED_PAD src0_sel:WORD_1 src1_sel:DWORD
	v_fma_f16 v55, v47, 0x3b15, -v55
	v_fmac_f16_e32 v77, 0x3770, v45
	v_add_f16_e32 v65, v52, v65
	v_fma_f16 v52, v47, 0x2fb7, -v51
	v_pk_add_f16 v51, v0, v3 neg_lo:[0,1] neg_hi:[0,1]
	v_add_f16_e32 v67, v74, v67
	v_fmamk_f16 v74, v45, 0x3bf1, v68
	v_add_f16_e32 v61, v55, v61
	v_add_f16_e32 v62, v77, v62
	v_fmac_f16_e32 v68, 0xbbf1, v45
	v_mul_f16_sdwa v77, v47, v48 dst_sel:DWORD dst_unused:UNUSED_PAD src0_sel:WORD_1 src1_sel:DWORD
	v_pk_add_f16 v55, v3, v0
	v_pk_mul_f16 v0, 0xb94e, v51 op_sel_hi:[0,1]
	v_add_f16_e32 v73, v52, v73
	v_add_f16_e32 v68, v68, v75
	v_fmamk_f16 v75, v45, 0xb3a8, v77
	v_add_f16_e32 v63, v76, v63
	v_pk_fma_f16 v3, 0xb9fd, v55, v0 op_sel:[0,0,1] op_sel_hi:[0,1,0]
	v_pk_fma_f16 v52, 0xb9fd, v55, v0 op_sel:[0,0,1] op_sel_hi:[0,1,0] neg_lo:[0,0,1] neg_hi:[0,0,1]
	v_mul_f16_sdwa v0, v51, v70 dst_sel:DWORD dst_unused:UNUSED_PAD src0_sel:WORD_1 src1_sel:DWORD
	v_mov_b32_e32 v76, 0x33a8
	v_add_f16_e32 v70, v75, v72
	v_mul_f16_sdwa v50, v55, v50 dst_sel:DWORD dst_unused:UNUSED_PAD src0_sel:WORD_1 src1_sel:DWORD
	v_bfi_b32 v72, 0xffff, v3, v52
	v_fmamk_f16 v75, v55, 0x2fb7, v0
	v_mul_f16_sdwa v49, v51, v49 dst_sel:DWORD dst_unused:UNUSED_PAD src0_sel:WORD_1 src1_sel:DWORD
	v_add_f16_e32 v71, v74, v71
	v_mul_f16_sdwa v74, v45, v76 dst_sel:DWORD dst_unused:UNUSED_PAD src0_sel:WORD_1 src1_sel:DWORD
	v_pk_add_f16 v66, v72, v66
	v_add_f16_e32 v58, v75, v58
	v_fmamk_f16 v72, v51, 0xbbf1, v50
	v_fmac_f16_e32 v50, 0x3bf1, v51
	v_fmamk_f16 v75, v55, 0x388b, v49
	v_fmamk_f16 v78, v47, 0xbbc4, v74
	v_fma_f16 v74, v47, 0xbbc4, -v74
	v_fma_f16 v0, v55, 0x2fb7, -v0
	v_add_f16_e32 v50, v50, v60
	v_add_f16_e32 v60, v75, v67
	v_mul_f16_sdwa v67, v51, v76 dst_sel:DWORD dst_unused:UNUSED_PAD src0_sel:WORD_1 src1_sel:DWORD
	v_add_f16_e32 v56, v74, v56
	v_mul_f16_sdwa v74, v55, v27 dst_sel:DWORD dst_unused:UNUSED_PAD src0_sel:WORD_1 src1_sel:DWORD
	;; [unrolled: 2-line block ×3, first 2 shown]
	v_fma_f16 v49, v55, 0x388b, -v49
	v_fmamk_f16 v72, v55, 0xbbc4, v67
	v_add_f16_e32 v59, v0, v59
	v_fmamk_f16 v0, v51, 0x3a95, v74
	v_fmac_f16_e32 v74, 0xba95, v51
	v_fmamk_f16 v75, v51, 0xb3a8, v48
	v_add_f16_e32 v49, v49, v61
	v_add_f16_e32 v61, v72, v65
	v_fma_f16 v65, v55, 0xbbc4, -v67
	v_mul_f16_sdwa v67, v51, v53 dst_sel:DWORD dst_unused:UNUSED_PAD src0_sel:WORD_1 src1_sel:DWORD
	v_pk_add_f16 v72, v1, v2 neg_lo:[0,1] neg_hi:[0,1]
	v_fmac_f16_e32 v77, 0x33a8, v45
	v_add_f16_e32 v69, v0, v69
	v_mad_u32_u24 v0, v22, 52, v46
	v_add_f16_e32 v46, v74, v62
	v_add_f16_e32 v62, v75, v71
	v_mul_f16_sdwa v71, v55, v54 dst_sel:DWORD dst_unused:UNUSED_PAD src0_sel:WORD_1 src1_sel:DWORD
	v_pk_add_f16 v1, v2, v1
	v_fmamk_f16 v2, v55, 0x3b15, v67
	v_fma_f16 v67, v55, 0x3b15, -v67
	v_mul_f16_sdwa v53, v72, v53 dst_sel:DWORD dst_unused:UNUSED_PAD src0_sel:WORD_1 src1_sel:DWORD
	v_add_f16_e32 v64, v78, v64
	v_add_f16_e32 v57, v77, v57
	v_fmamk_f16 v74, v51, 0xb770, v71
	v_mul_f16_sdwa v54, v1, v54 dst_sel:DWORD dst_unused:UNUSED_PAD src0_sel:WORD_1 src1_sel:DWORD
	v_fmac_f16_e32 v71, 0x3770, v51
	v_add_f16_e32 v56, v67, v56
	v_fmamk_f16 v67, v1, 0x3b15, v53
	v_mul_f16_sdwa v33, v72, v33 dst_sel:DWORD dst_unused:UNUSED_PAD src0_sel:WORD_1 src1_sel:DWORD
	v_add_f16_e32 v2, v2, v64
	v_add_f16_e32 v64, v74, v70
	v_fmamk_f16 v74, v72, 0xb770, v54
	v_add_f16_e32 v57, v71, v57
	v_add_f16_e32 v58, v67, v58
	v_fma_f16 v53, v1, 0x3b15, -v53
	v_fmac_f16_e32 v54, 0x3770, v72
	v_fmamk_f16 v67, v1, 0xb9fd, v33
	v_mov_b32_e32 v71, 0x3a95
	v_mul_f16_sdwa v28, v1, v28 dst_sel:DWORD dst_unused:UNUSED_PAD src0_sel:WORD_1 src1_sel:DWORD
	v_fmac_f16_e32 v48, 0x33a8, v51
	v_pk_mul_f16 v75, 0xb3a8, v72 op_sel_hi:[0,1]
	v_add_f16_e32 v53, v53, v59
	v_add_f16_e32 v50, v54, v50
	v_add_f16_e32 v54, v67, v60
	v_mul_f16_sdwa v59, v72, v71 dst_sel:DWORD dst_unused:UNUSED_PAD src0_sel:WORD_1 src1_sel:DWORD
	v_fmamk_f16 v60, v72, 0x394e, v28
	v_fmac_f16_e32 v28, 0xb94e, v72
	v_mul_f16_sdwa v27, v1, v27 dst_sel:DWORD dst_unused:UNUSED_PAD src0_sel:WORD_1 src1_sel:DWORD
	v_add_f16_e32 v48, v48, v68
	v_pk_fma_f16 v68, 0xbbc4, v1, v75 op_sel:[0,0,1] op_sel_hi:[0,1,0]
	v_pk_fma_f16 v70, 0xbbc4, v1, v75 op_sel:[0,0,1] op_sel_hi:[0,1,0] neg_lo:[0,0,1] neg_hi:[0,0,1]
	v_fma_f16 v33, v1, 0xb9fd, -v33
	v_fmamk_f16 v67, v1, 0x388b, v59
	v_add_f16_e32 v28, v28, v46
	v_fmamk_f16 v46, v72, 0xba95, v27
	v_mul_f16_sdwa v26, v72, v26 dst_sel:DWORD dst_unused:UNUSED_PAD src0_sel:WORD_1 src1_sel:DWORD
	v_mul_f16_sdwa v25, v1, v25 dst_sel:DWORD dst_unused:UNUSED_PAD src0_sel:WORD_1 src1_sel:DWORD
	v_add_f16_e32 v65, v65, v73
	v_bfi_b32 v73, 0xffff, v68, v70
	v_add_f16_e32 v33, v33, v49
	v_add_f16_e32 v49, v67, v61
	;; [unrolled: 1-line block ×3, first 2 shown]
	v_fmac_f16_e32 v27, 0x3a95, v72
	v_fmamk_f16 v61, v1, 0xb5ac, v26
	v_fmamk_f16 v62, v72, 0x3b7b, v25
	v_fma_f16 v26, v1, 0xb5ac, -v26
	v_pk_mul_f16 v37, 0xbbc4, v37 op_sel_hi:[0,1]
	v_pk_add_f16 v66, v73, v66
	v_add_f16_e32 v63, v74, v63
	v_add_f16_e32 v60, v60, v69
	;; [unrolled: 1-line block ×3, first 2 shown]
	v_fmac_f16_e32 v25, 0xbb7b, v72
	v_add_f16_e32 v2, v61, v2
	v_add_f16_e32 v48, v62, v64
	;; [unrolled: 1-line block ×3, first 2 shown]
	v_pk_fma_f16 v56, 0xb3a8, v32, v37 op_sel:[0,0,1] op_sel_hi:[0,1,0]
	v_pk_mul_f16 v34, 0x3b15, v34 op_sel_hi:[0,1]
	v_add_f16_e32 v25, v25, v57
	v_pack_b32_f16 v54, v54, v60
	v_pack_b32_f16 v57, v58, v63
	ds_write2_b32 v0, v38, v66 offset1:1
	v_alignbit_b32 v38, s0, v56, 16
	v_pack_b32_f16 v2, v2, v48
	v_pk_fma_f16 v32, 0xb3a8, v32, v37 op_sel:[0,0,1] op_sel_hi:[0,1,0] neg_lo:[0,1,0] neg_hi:[0,1,0]
	v_pk_fma_f16 v37, 0x3770, v31, v34 op_sel:[0,0,1] op_sel_hi:[0,1,0]
	v_pk_mul_f16 v42, 0xb9fd, v42 op_sel_hi:[0,1]
	v_alignbit_b32 v48, s0, v24, 16
	ds_write2_b32 v0, v57, v54 offset0:2 offset1:3
	v_pk_add_f16 v38, v24, v38
	v_pk_add_f16 v32, v24, v32 op_sel:[1,0] op_sel_hi:[0,1]
	v_alignbit_b32 v54, s0, v37, 16
	v_pk_fma_f16 v31, 0x3770, v31, v34 op_sel:[0,0,1] op_sel_hi:[0,1,0] neg_lo:[0,1,0] neg_hi:[0,1,0]
	v_pk_fma_f16 v34, 0xb94e, v41, v42 op_sel:[0,0,1] op_sel_hi:[0,1,0]
	v_pk_add_f16 v48, v48, v56
	v_pk_mul_f16 v47, 0x388b, v47 op_sel_hi:[0,1]
	v_pk_add_f16 v38, v54, v38
	v_pk_add_f16 v31, v31, v32
	v_alignbit_b32 v32, s0, v34, 16
	v_pk_fma_f16 v41, 0xb94e, v41, v42 op_sel:[0,0,1] op_sel_hi:[0,1,0] neg_lo:[0,1,0] neg_hi:[0,1,0]
	v_pk_fma_f16 v42, 0x3a95, v45, v47 op_sel:[0,0,1] op_sel_hi:[0,1,0]
	v_pk_add_f16 v37, v37, v48
	v_pk_mul_f16 v48, 0xb5ac, v55 op_sel_hi:[0,1]
	v_bfi_b32 v29, 0xffff, v30, v29
	v_pk_add_f16 v32, v32, v38
	v_pk_add_f16 v31, v41, v31
	v_alignbit_b32 v38, s0, v42, 16
	v_pk_fma_f16 v41, 0x3a95, v45, v47 op_sel:[0,0,1] op_sel_hi:[0,1,0] neg_lo:[0,1,0] neg_hi:[0,1,0]
	v_pk_fma_f16 v45, 0xbb7b, v51, v48 op_sel:[0,0,1] op_sel_hi:[0,1,0]
	v_pk_add_f16 v24, v24, v29
	v_bfi_b32 v29, 0xffff, v36, v35
	v_fma_f16 v59, v1, 0x388b, -v59
	v_pk_add_f16 v34, v34, v37
	v_pk_add_f16 v30, v38, v32
	v_alignbit_b32 v32, s0, v45, 16
	v_pk_mul_f16 v1, 0x2fb7, v1 op_sel_hi:[0,1]
	v_pk_add_f16 v24, v29, v24
	v_bfi_b32 v29, 0xffff, v40, v39
	v_pk_add_f16 v31, v41, v31
	v_pk_add_f16 v34, v42, v34
	v_pk_fma_f16 v35, 0xbb7b, v51, v48 op_sel:[0,0,1] op_sel_hi:[0,1,0] neg_lo:[0,1,0] neg_hi:[0,1,0]
	v_pk_add_f16 v30, v32, v30
	v_pk_fma_f16 v32, 0x3bf1, v72, v1 op_sel:[0,0,1] op_sel_hi:[0,1,0]
	v_pk_add_f16 v24, v29, v24
	v_bfi_b32 v29, 0xffff, v44, v43
	v_pk_add_f16 v31, v35, v31
	v_pk_add_f16 v34, v45, v34
	v_pk_fma_f16 v1, 0x3bf1, v72, v1 op_sel:[0,0,1] op_sel_hi:[0,1,0] neg_lo:[0,1,0] neg_hi:[0,1,0]
	v_alignbit_b32 v35, s0, v32, 16
	v_pk_add_f16 v24, v29, v24
	v_bfi_b32 v3, 0xffff, v52, v3
	v_pack_b32_f16 v36, v49, v46
	v_pk_add_f16 v1, v1, v31
	v_pk_add_f16 v31, v32, v34
	v_pk_add_f16 v30, v35, v30
	v_pk_add_f16 v3, v3, v24
	v_bfi_b32 v24, 0xffff, v70, v68
	v_mul_u32_u24_e32 v29, 12, v22
	v_add_f16_e32 v59, v59, v65
	ds_write2_b32 v0, v36, v2 offset0:4 offset1:5
	v_alignbit_b32 v2, v31, v1, 16
	v_pack_b32_f16 v1, v30, v1
	v_pk_add_f16 v3, v24, v3
	v_lshlrev_b32_e32 v24, 2, v29
	v_pack_b32_f16 v27, v59, v27
	v_pack_b32_f16 v25, v26, v25
	;; [unrolled: 1-line block ×4, first 2 shown]
	ds_write2_b32 v0, v1, v2 offset0:6 offset1:7
	ds_write2_b32 v0, v25, v27 offset0:8 offset1:9
	;; [unrolled: 1-line block ×3, first 2 shown]
	ds_write_b32 v0, v3 offset:48
	s_waitcnt lgkmcnt(0)
	s_barrier
	buffer_gl0_inv
	s_clause 0x2
	global_load_dwordx4 v[0:3], v24, s[16:17]
	global_load_dwordx4 v[34:37], v24, s[16:17] offset:16
	global_load_dwordx4 v[41:44], v24, s[16:17] offset:32
	ds_read2_b32 v[24:25], v20 offset0:65 offset1:78
	ds_read2_b32 v[28:29], v20 offset0:91 offset1:104
	;; [unrolled: 1-line block ×6, first 2 shown]
	ds_read_b32 v47, v23
	ds_read_u16 v23, v20 offset:210
	s_waitcnt lgkmcnt(7)
	v_lshrrev_b32_e32 v40, 16, v24
	v_lshrrev_b32_e32 v48, 16, v25
	s_waitcnt lgkmcnt(6)
	v_lshrrev_b32_e32 v49, 16, v28
	s_waitcnt lgkmcnt(4)
	v_lshrrev_b32_e32 v33, 16, v26
	v_lshrrev_b32_e32 v54, 16, v27
	s_waitcnt lgkmcnt(2)
	v_lshrrev_b32_e32 v56, 16, v30
	v_lshrrev_b32_e32 v50, 16, v29
	;; [unrolled: 1-line block ×6, first 2 shown]
	s_waitcnt vmcnt(2)
	v_mul_f16_sdwa v57, v0, v33 dst_sel:DWORD dst_unused:UNUSED_PAD src0_sel:WORD_1 src1_sel:DWORD
	v_mul_f16_sdwa v58, v0, v26 dst_sel:DWORD dst_unused:UNUSED_PAD src0_sel:WORD_1 src1_sel:DWORD
	v_mul_f16_sdwa v59, v1, v54 dst_sel:DWORD dst_unused:UNUSED_PAD src0_sel:WORD_1 src1_sel:DWORD
	v_mul_f16_sdwa v60, v1, v27 dst_sel:DWORD dst_unused:UNUSED_PAD src0_sel:WORD_1 src1_sel:DWORD
	v_mul_f16_sdwa v32, v2, v56 dst_sel:DWORD dst_unused:UNUSED_PAD src0_sel:WORD_1 src1_sel:DWORD
	v_fmac_f16_e32 v57, v0, v26
	v_fma_f16 v58, v0, v33, -v58
	v_fmac_f16_e32 v59, v1, v27
	v_fma_f16 v54, v1, v54, -v60
	v_mul_f16_sdwa v0, v2, v30 dst_sel:DWORD dst_unused:UNUSED_PAD src0_sel:WORD_1 src1_sel:DWORD
	v_fmac_f16_e32 v32, v2, v30
	s_waitcnt lgkmcnt(0)
	v_mul_f16_sdwa v30, v23, v3 dst_sel:DWORD dst_unused:UNUSED_PAD src0_sel:DWORD src1_sel:WORD_1
	v_mul_f16_sdwa v1, v3, v31 dst_sel:DWORD dst_unused:UNUSED_PAD src0_sel:WORD_1 src1_sel:DWORD
	s_waitcnt vmcnt(1)
	v_mul_f16_sdwa v26, v40, v34 dst_sel:DWORD dst_unused:UNUSED_PAD src0_sel:DWORD src1_sel:WORD_1
	v_fma_f16 v33, v2, v56, -v0
	v_mul_f16_sdwa v2, v24, v34 dst_sel:DWORD dst_unused:UNUSED_PAD src0_sel:DWORD src1_sel:WORD_1
	v_fmac_f16_e32 v30, v3, v31
	v_fma_f16 v31, v23, v3, -v1
	v_add_f16_e32 v3, v57, v47
	v_mul_f16_sdwa v0, v48, v35 dst_sel:DWORD dst_unused:UNUSED_PAD src0_sel:DWORD src1_sel:WORD_1
	v_fmac_f16_e32 v26, v24, v34
	v_fma_f16 v27, v40, v34, -v2
	v_mul_f16_sdwa v2, v25, v35 dst_sel:DWORD dst_unused:UNUSED_PAD src0_sel:DWORD src1_sel:WORD_1
	v_add_f16_e32 v3, v3, v59
	v_fmac_f16_e32 v0, v25, v35
	v_mul_f16_sdwa v1, v49, v36 dst_sel:DWORD dst_unused:UNUSED_PAD src0_sel:DWORD src1_sel:WORD_1
	v_mul_f16_sdwa v24, v28, v36 dst_sel:DWORD dst_unused:UNUSED_PAD src0_sel:DWORD src1_sel:WORD_1
	s_waitcnt vmcnt(0)
	v_mul_f16_sdwa v40, v51, v41 dst_sel:DWORD dst_unused:UNUSED_PAD src0_sel:DWORD src1_sel:WORD_1
	v_add_f16_e32 v25, v3, v32
	v_add_f16_sdwa v23, v58, v47 dst_sel:DWORD dst_unused:UNUSED_PAD src0_sel:DWORD src1_sel:WORD_1
	v_fmac_f16_e32 v1, v28, v36
	v_mul_f16_sdwa v28, v50, v37 dst_sel:DWORD dst_unused:UNUSED_PAD src0_sel:DWORD src1_sel:WORD_1
	v_fma_f16 v3, v49, v36, -v24
	v_mul_f16_sdwa v24, v29, v37 dst_sel:DWORD dst_unused:UNUSED_PAD src0_sel:DWORD src1_sel:WORD_1
	v_add_f16_e32 v25, v25, v30
	v_fmac_f16_e32 v40, v38, v41
	v_fmac_f16_e32 v28, v29, v37
	v_mul_f16_sdwa v34, v52, v42 dst_sel:DWORD dst_unused:UNUSED_PAD src0_sel:DWORD src1_sel:WORD_1
	v_fma_f16 v29, v50, v37, -v24
	v_mul_f16_sdwa v24, v38, v41 dst_sel:DWORD dst_unused:UNUSED_PAD src0_sel:DWORD src1_sel:WORD_1
	v_add_f16_e32 v25, v25, v26
	v_fma_f16 v2, v48, v35, -v2
	v_add_f16_e32 v23, v23, v54
	v_fmac_f16_e32 v34, v39, v42
	v_fma_f16 v41, v51, v41, -v24
	v_add_f16_e32 v24, v25, v0
	v_mul_f16_sdwa v25, v39, v42 dst_sel:DWORD dst_unused:UNUSED_PAD src0_sel:DWORD src1_sel:WORD_1
	v_mul_f16_sdwa v37, v53, v43 dst_sel:DWORD dst_unused:UNUSED_PAD src0_sel:DWORD src1_sel:WORD_1
	v_add_f16_e32 v23, v23, v33
	v_mul_f16_sdwa v36, v55, v44 dst_sel:DWORD dst_unused:UNUSED_PAD src0_sel:DWORD src1_sel:WORD_1
	v_add_f16_e32 v24, v24, v1
	v_fma_f16 v35, v52, v42, -v25
	v_mul_f16_sdwa v25, v46, v44 dst_sel:DWORD dst_unused:UNUSED_PAD src0_sel:DWORD src1_sel:WORD_1
	v_fmac_f16_e32 v37, v45, v43
	v_add_f16_e32 v23, v23, v31
	v_add_f16_e32 v24, v24, v28
	v_fmac_f16_e32 v36, v46, v44
	v_fma_f16 v25, v55, v44, -v25
	v_mul_f16_sdwa v38, v45, v43 dst_sel:DWORD dst_unused:UNUSED_PAD src0_sel:DWORD src1_sel:WORD_1
	v_add_f16_e32 v23, v23, v27
	v_add_f16_e32 v24, v24, v40
	;; [unrolled: 1-line block ×3, first 2 shown]
	v_sub_f16_e32 v39, v58, v25
	v_add_f16_e32 v44, v58, v25
	v_sub_f16_e32 v46, v57, v36
	v_add_f16_e32 v24, v24, v34
	v_add_f16_e32 v23, v23, v2
	v_fma_f16 v38, v53, v43, -v38
	v_mul_f16_e32 v49, 0x388b, v44
	v_mul_f16_e32 v53, 0x2fb7, v44
	v_add_f16_e32 v24, v24, v37
	v_add_f16_e32 v23, v23, v3
	v_mul_f16_e32 v63, 0xb9fd, v44
	v_fmamk_f16 v51, v46, 0x3a95, v49
	v_fmac_f16_e32 v49, 0xba95, v46
	v_add_f16_e32 v24, v24, v36
	v_mul_f16_e32 v36, 0xba95, v39
	v_add_f16_e32 v23, v23, v29
	v_mul_f16_e32 v43, 0xb770, v39
	v_add_f16_sdwa v57, v49, v47 dst_sel:DWORD dst_unused:UNUSED_PAD src0_sel:DWORD src1_sel:WORD_1
	v_fmamk_f16 v49, v46, 0x3bf1, v53
	v_fmamk_f16 v50, v42, 0x388b, v36
	v_fma_f16 v36, v42, 0x388b, -v36
	v_add_f16_e32 v23, v23, v41
	v_sub_f16_e32 v69, v54, v38
	v_add_f16_sdwa v60, v49, v47 dst_sel:DWORD dst_unused:UNUSED_PAD src0_sel:DWORD src1_sel:WORD_1
	v_add_f16_e32 v52, v50, v47
	v_mul_f16_e32 v50, 0xbbf1, v39
	v_add_f16_e32 v56, v36, v47
	v_mul_f16_e32 v36, 0xbb7b, v39
	v_mul_f16_e32 v49, 0xb5ac, v44
	v_add_f16_e32 v23, v23, v35
	v_fmamk_f16 v55, v42, 0x2fb7, v50
	v_fma_f16 v50, v42, 0x2fb7, -v50
	v_fmamk_f16 v58, v42, 0xb5ac, v36
	v_fma_f16 v36, v42, 0xb5ac, -v36
	v_fmamk_f16 v62, v46, 0x3b7b, v49
	v_fmac_f16_e32 v49, 0xbb7b, v46
	v_add_f16_e32 v61, v50, v47
	v_mul_f16_e32 v50, 0xb94e, v39
	v_add_f16_e32 v65, v36, v47
	v_fmamk_f16 v36, v46, 0x394e, v63
	v_mul_f16_e32 v39, 0xb3a8, v39
	v_add_f16_sdwa v66, v49, v47 dst_sel:DWORD dst_unused:UNUSED_PAD src0_sel:DWORD src1_sel:WORD_1
	v_fma_f16 v49, v42, 0xb9fd, -v50
	v_add_f16_e32 v23, v23, v38
	v_add_f16_sdwa v67, v36, v47 dst_sel:DWORD dst_unused:UNUSED_PAD src0_sel:DWORD src1_sel:WORD_1
	v_fmamk_f16 v36, v42, 0xbbc4, v39
	v_fmamk_f16 v45, v42, 0x3b15, v43
	v_mul_f16_e32 v48, 0x3b15, v44
	v_mul_f16_e32 v44, 0xbbc4, v44
	v_add_f16_e32 v68, v49, v47
	v_add_f16_e32 v70, v36, v47
	;; [unrolled: 1-line block ×3, first 2 shown]
	v_mul_f16_e32 v49, 0xba95, v69
	v_add_f16_e32 v54, v54, v38
	v_add_f16_e32 v23, v23, v25
	;; [unrolled: 1-line block ×3, first 2 shown]
	v_fmamk_f16 v45, v46, 0x3770, v48
	v_fma_f16 v43, v42, 0x3b15, -v43
	v_fmamk_f16 v64, v42, 0xb9fd, v50
	v_fmamk_f16 v50, v46, 0x33a8, v44
	v_fma_f16 v38, v42, 0xbbc4, -v39
	v_fmac_f16_e32 v44, 0xb3a8, v46
	v_sub_f16_e32 v37, v59, v37
	v_fmamk_f16 v42, v36, 0x388b, v49
	v_mul_f16_e32 v59, 0x388b, v54
	v_fmac_f16_e32 v48, 0xb770, v46
	v_add_f16_sdwa v45, v45, v47 dst_sel:DWORD dst_unused:UNUSED_PAD src0_sel:DWORD src1_sel:WORD_1
	v_add_f16_e32 v43, v43, v47
	v_fmac_f16_e32 v53, 0xbbf1, v46
	v_fmac_f16_e32 v63, 0xb94e, v46
	v_add_f16_sdwa v39, v44, v47 dst_sel:DWORD dst_unused:UNUSED_PAD src0_sel:DWORD src1_sel:WORD_1
	v_mul_f16_e32 v44, 0xbb7b, v69
	v_add_f16_e32 v46, v42, v25
	v_fmamk_f16 v25, v37, 0x3a95, v59
	v_fma_f16 v42, v36, 0x388b, -v49
	v_mul_f16_e32 v72, 0xb5ac, v54
	v_add_f16_sdwa v48, v48, v47 dst_sel:DWORD dst_unused:UNUSED_PAD src0_sel:DWORD src1_sel:WORD_1
	v_add_f16_sdwa v51, v51, v47 dst_sel:DWORD dst_unused:UNUSED_PAD src0_sel:DWORD src1_sel:WORD_1
	v_add_f16_e32 v55, v55, v47
	v_add_f16_sdwa v53, v53, v47 dst_sel:DWORD dst_unused:UNUSED_PAD src0_sel:DWORD src1_sel:WORD_1
	v_add_f16_e32 v58, v58, v47
	;; [unrolled: 2-line block ×3, first 2 shown]
	v_add_f16_sdwa v63, v63, v47 dst_sel:DWORD dst_unused:UNUSED_PAD src0_sel:DWORD src1_sel:WORD_1
	v_add_f16_sdwa v71, v50, v47 dst_sel:DWORD dst_unused:UNUSED_PAD src0_sel:DWORD src1_sel:WORD_1
	v_add_f16_e32 v38, v38, v47
	v_fmac_f16_e32 v59, 0xba95, v37
	v_fmamk_f16 v47, v36, 0xb5ac, v44
	v_add_f16_e32 v73, v25, v45
	v_add_f16_e32 v50, v42, v43
	v_fmamk_f16 v25, v37, 0x3b7b, v72
	v_mul_f16_e32 v42, 0xb3a8, v69
	v_add_f16_e32 v49, v59, v48
	v_add_f16_e32 v48, v47, v52
	v_fma_f16 v43, v36, 0xb5ac, -v44
	v_mul_f16_e32 v52, 0xbbc4, v54
	v_add_f16_e32 v51, v25, v51
	v_fmamk_f16 v25, v36, 0xbbc4, v42
	v_fmac_f16_e32 v72, 0xbb7b, v37
	v_add_f16_e32 v44, v43, v56
	v_fmamk_f16 v43, v37, 0x33a8, v52
	v_fma_f16 v56, v36, 0xbbc4, -v42
	v_add_f16_e32 v47, v25, v55
	v_mul_f16_e32 v25, 0x394e, v69
	v_mul_f16_e32 v55, 0xb9fd, v54
	v_add_f16_e32 v42, v43, v60
	v_add_f16_e32 v43, v56, v61
	v_fmac_f16_e32 v52, 0xb3a8, v37
	v_fmamk_f16 v56, v36, 0xb9fd, v25
	v_fmamk_f16 v59, v37, 0xb94e, v55
	v_fma_f16 v60, v36, 0xb9fd, -v25
	v_fmac_f16_e32 v55, 0x394e, v37
	v_add_f16_e32 v52, v52, v53
	v_add_f16_e32 v53, v56, v58
	;; [unrolled: 1-line block ×3, first 2 shown]
	v_mul_f16_e32 v62, 0x2fb7, v54
	v_add_f16_e32 v58, v60, v65
	v_mul_f16_e32 v60, 0x3bf1, v69
	v_add_nc_u32_e32 v61, 13, v22
	v_add_f16_e32 v45, v72, v57
	v_fmamk_f16 v74, v37, 0xbbf1, v62
	v_add_f16_e32 v55, v55, v66
	v_fmamk_f16 v72, v36, 0x2fb7, v60
	v_mul_f16_e32 v54, 0x3b15, v54
	v_mul_lo_u32 v61, v21, v61
	v_add_f16_e32 v66, v74, v67
	v_mul_f16_e32 v67, 0x3770, v69
	v_mov_b32_e32 v25, 2
	v_fma_f16 v60, v36, 0x2fb7, -v60
	v_add_f16_e32 v64, v72, v64
	v_fmac_f16_e32 v62, 0x3bf1, v37
	v_fmamk_f16 v69, v36, 0x3b15, v67
	v_fmamk_f16 v72, v37, 0xb770, v54
	v_add_f16_e32 v60, v60, v68
	v_lshlrev_b32_sdwa v68, v25, v61 dst_sel:DWORD dst_unused:UNUSED_PAD src0_sel:DWORD src1_sel:BYTE_0
	v_lshlrev_b32_sdwa v74, v25, v61 dst_sel:DWORD dst_unused:UNUSED_PAD src0_sel:DWORD src1_sel:BYTE_1
	v_add_f16_e32 v62, v62, v63
	v_bfe_u32 v61, v61, 16, 8
	v_add_f16_e32 v63, v69, v70
	v_add_f16_e32 v69, v72, v71
	;; [unrolled: 1-line block ×3, first 2 shown]
	v_sub_f16_e32 v70, v33, v35
	v_lshl_or_b32 v33, v61, 2, 0x800
	v_add_f16_e32 v61, v32, v34
	v_sub_f16_e32 v72, v32, v34
	v_mul_f16_e32 v34, 0x2fb7, v71
	v_mul_lo_u32 v57, v21, v22
	v_mul_f16_e32 v32, 0xbbf1, v70
	v_add_nc_u32_e32 v35, 26, v22
	v_fma_f16 v36, v36, 0x3b15, -v67
	v_fmamk_f16 v67, v72, 0x3bf1, v34
	v_fmac_f16_e32 v54, 0x3770, v37
	v_fmamk_f16 v37, v61, 0x2fb7, v32
	v_mul_lo_u32 v75, v21, v35
	v_mul_f16_e32 v35, 0xb3a8, v70
	v_add_f16_e32 v67, v67, v73
	v_fma_f16 v32, v61, 0x2fb7, -v32
	v_mul_f16_e32 v73, 0xbbc4, v71
	v_lshlrev_b32_sdwa v59, v25, v57 dst_sel:DWORD dst_unused:UNUSED_PAD src0_sel:DWORD src1_sel:BYTE_0
	v_lshlrev_b32_sdwa v65, v25, v57 dst_sel:DWORD dst_unused:UNUSED_PAD src0_sel:DWORD src1_sel:BYTE_1
	v_bfe_u32 v57, v57, 16, 8
	v_add_f16_e32 v76, v36, v38
	v_fmac_f16_e32 v34, 0xbbf1, v72
	v_fmamk_f16 v36, v61, 0xbbc4, v35
	v_add_f16_e32 v50, v32, v50
	v_fmamk_f16 v32, v72, 0x33a8, v73
	v_mul_f16_e32 v79, 0x3b7b, v70
	v_lshl_or_b32 v57, v57, 2, 0x800
	v_add_f16_e32 v54, v54, v39
	v_add_f16_e32 v46, v37, v46
	v_lshlrev_b32_sdwa v77, v25, v75 dst_sel:DWORD dst_unused:UNUSED_PAD src0_sel:DWORD src1_sel:BYTE_0
	v_add_f16_e32 v49, v34, v49
	v_lshlrev_b32_sdwa v78, v25, v75 dst_sel:DWORD dst_unused:UNUSED_PAD src0_sel:DWORD src1_sel:BYTE_1
	v_add_f16_e32 v48, v36, v48
	v_add_f16_e32 v51, v32, v51
	v_fma_f16 v80, v61, 0xbbc4, -v35
	s_clause 0x7
	global_load_dword v39, v59, s[8:9]
	global_load_dword v38, v65, s[8:9] offset:1024
	global_load_dword v35, v57, s[8:9]
	global_load_dword v37, v68, s[8:9]
	global_load_dword v36, v74, s[8:9] offset:1024
	global_load_dword v32, v33, s[8:9]
	global_load_dword v34, v77, s[8:9]
	global_load_dword v33, v78, s[8:9] offset:1024
	v_fmamk_f16 v57, v61, 0xb5ac, v79
	v_mul_f16_e32 v59, 0xb5ac, v71
	v_fmac_f16_e32 v73, 0xb3a8, v72
	v_mul_f16_e32 v68, 0x3770, v70
	v_mul_f16_e32 v74, 0x3b15, v71
	v_add_f16_e32 v47, v57, v47
	v_fmamk_f16 v57, v72, 0xbb7b, v59
	v_add_f16_e32 v45, v73, v45
	v_fma_f16 v73, v61, 0xb5ac, -v79
	v_bfe_u32 v65, v75, 16, 8
	v_mul_f16_e32 v75, 0xba95, v70
	v_add_f16_e32 v42, v57, v42
	v_fmamk_f16 v57, v61, 0x3b15, v68
	v_add_f16_e32 v43, v73, v43
	v_fmamk_f16 v73, v72, 0xb770, v74
	v_fmac_f16_e32 v74, 0x3770, v72
	v_mul_f16_e32 v70, 0xb94e, v70
	v_add_f16_e32 v53, v57, v53
	v_mul_f16_e32 v57, 0x388b, v71
	v_add_f16_e32 v56, v73, v56
	v_add_f16_e32 v55, v74, v55
	v_fma_f16 v74, v61, 0x388b, -v75
	v_fma_f16 v68, v61, 0x3b15, -v68
	v_fmamk_f16 v73, v72, 0x3a95, v57
	v_fmac_f16_e32 v57, 0xba95, v72
	v_fmamk_f16 v77, v61, 0x388b, v75
	v_fmamk_f16 v75, v61, 0xb9fd, v70
	v_add_f16_e32 v74, v74, v60
	v_mul_f16_e32 v60, 0xb9fd, v71
	v_add_f16_e32 v57, v57, v62
	v_sub_f16_e32 v62, v31, v41
	v_fma_f16 v61, v61, 0xb9fd, -v70
	v_add_f16_e32 v70, v30, v40
	v_add_f16_e32 v31, v31, v41
	v_fmac_f16_e32 v59, 0x3b7b, v72
	v_mul_f16_e32 v71, 0xbb7b, v62
	v_fmamk_f16 v41, v72, 0x394e, v60
	v_fmac_f16_e32 v60, 0xb94e, v72
	v_sub_f16_e32 v72, v30, v40
	v_mul_f16_e32 v40, 0xb5ac, v31
	v_fmamk_f16 v30, v70, 0xb5ac, v71
	v_add_f16_e32 v63, v75, v63
	v_add_f16_e32 v69, v41, v69
	;; [unrolled: 1-line block ×3, first 2 shown]
	v_mul_f16_e32 v41, 0x394e, v62
	v_add_f16_e32 v46, v30, v46
	v_fmamk_f16 v30, v72, 0x3b7b, v40
	v_fmac_f16_e32 v40, 0xbb7b, v72
	v_mul_f16_e32 v61, 0xb9fd, v31
	v_add_f16_e32 v64, v77, v64
	v_add_f16_e32 v44, v80, v44
	;; [unrolled: 1-line block ×3, first 2 shown]
	v_fmamk_f16 v30, v70, 0xb9fd, v41
	v_add_f16_e32 v76, v40, v49
	v_fmamk_f16 v40, v72, 0xb94e, v61
	v_mul_f16_e32 v49, 0x3770, v62
	v_add_f16_e32 v52, v59, v52
	v_add_f16_e32 v77, v30, v48
	v_fma_f16 v30, v70, 0xb9fd, -v41
	v_add_f16_e32 v78, v40, v51
	v_fmamk_f16 v40, v70, 0x3b15, v49
	v_mul_f16_e32 v41, 0x3b15, v31
	v_add_f16_e32 v54, v60, v54
	v_fma_f16 v60, v70, 0xb5ac, -v71
	v_fmac_f16_e32 v61, 0x394e, v72
	v_add_f16_e32 v81, v40, v47
	v_fmamk_f16 v40, v72, 0xb770, v41
	v_fmac_f16_e32 v41, 0x3770, v72
	v_mul_f16_e32 v47, 0x2fb7, v31
	v_add_f16_e32 v79, v30, v44
	v_mul_f16_e32 v30, 0xbbf1, v62
	v_fma_f16 v44, v70, 0x3b15, -v49
	v_add_f16_e32 v82, v40, v42
	v_add_f16_e32 v84, v41, v52
	v_fmamk_f16 v40, v72, 0x3bf1, v47
	v_mul_f16_e32 v41, 0x33a8, v62
	v_add_f16_e32 v58, v68, v58
	v_add_f16_e32 v71, v60, v50
	;; [unrolled: 1-line block ×3, first 2 shown]
	v_fmamk_f16 v45, v70, 0x2fb7, v30
	v_add_f16_e32 v83, v44, v43
	v_fma_f16 v30, v70, 0x2fb7, -v30
	v_mul_f16_e32 v43, 0xbbc4, v31
	v_fmac_f16_e32 v47, 0xbbf1, v72
	v_add_f16_e32 v60, v40, v56
	v_fmamk_f16 v40, v70, 0xbbc4, v41
	v_sub_f16_e32 v42, v27, v29
	v_add_f16_e32 v66, v73, v66
	v_add_f16_e32 v53, v45, v53
	;; [unrolled: 1-line block ×3, first 2 shown]
	v_fmamk_f16 v30, v72, 0xb3a8, v43
	v_add_f16_e32 v49, v47, v55
	v_mul_f16_e32 v44, 0x3a95, v62
	v_add_f16_e32 v50, v40, v64
	v_fma_f16 v40, v70, 0xbbc4, -v41
	v_fmac_f16_e32 v43, 0x33a8, v72
	v_mul_f16_e32 v45, 0x388b, v31
	v_add_f16_e32 v31, v26, v28
	v_mul_f16_e32 v47, 0xb94e, v42
	v_add_f16_e32 v29, v27, v29
	v_add_nc_u32_e32 v59, 39, v22
	v_add_f16_e32 v51, v30, v66
	v_fmamk_f16 v41, v70, 0x388b, v44
	v_add_f16_e32 v30, v40, v74
	v_add_f16_e32 v40, v43, v57
	v_fmamk_f16 v43, v72, 0xba95, v45
	v_fma_f16 v44, v70, 0x388b, -v44
	v_fmac_f16_e32 v45, 0x3a95, v72
	v_sub_f16_e32 v27, v26, v28
	v_fmamk_f16 v28, v31, 0xb9fd, v47
	v_mul_f16_e32 v52, 0xb9fd, v29
	v_mul_lo_u32 v59, v21, v59
	v_add_f16_e32 v26, v43, v69
	v_add_f16_e32 v43, v44, v75
	;; [unrolled: 1-line block ×4, first 2 shown]
	v_fmamk_f16 v45, v27, 0x394e, v52
	v_mul_f16_e32 v54, 0x3bf1, v42
	v_fma_f16 v46, v31, 0xb9fd, -v47
	v_fmac_f16_e32 v52, 0xb94e, v27
	v_mul_f16_e32 v55, 0x2fb7, v29
	v_add_nc_u32_e32 v57, 52, v22
	v_lshl_or_b32 v65, v65, 2, 0x800
	v_lshlrev_b32_sdwa v68, v25, v59 dst_sel:DWORD dst_unused:UNUSED_PAD src0_sel:DWORD src1_sel:BYTE_0
	v_bfe_u32 v73, v59, 16, 8
	v_lshlrev_b32_sdwa v59, v25, v59 dst_sel:DWORD dst_unused:UNUSED_PAD src0_sel:DWORD src1_sel:BYTE_1
	v_add_f16_e32 v48, v45, v67
	v_fmamk_f16 v47, v31, 0x2fb7, v54
	v_add_f16_e32 v45, v46, v71
	v_add_f16_e32 v46, v52, v76
	v_fmamk_f16 v52, v27, 0xbbf1, v55
	v_mul_f16_e32 v56, 0xba95, v42
	v_fma_f16 v54, v31, 0x2fb7, -v54
	v_mul_lo_u32 v57, v21, v57
	s_clause 0x2
	global_load_dword v62, v65, s[8:9]
	global_load_dword v66, v68, s[8:9]
	global_load_dword v67, v59, s[8:9] offset:1024
	v_add_f16_e32 v69, v52, v78
	v_fmamk_f16 v52, v31, 0x388b, v56
	v_add_f16_e32 v70, v54, v79
	v_add_nc_u32_e32 v54, 0x41, v22
	v_lshl_or_b32 v73, v73, 2, 0x800
	v_fmac_f16_e32 v55, 0x3bf1, v27
	v_add_f16_e32 v72, v52, v81
	v_lshlrev_b32_sdwa v52, v25, v57 dst_sel:DWORD dst_unused:UNUSED_PAD src0_sel:DWORD src1_sel:BYTE_0
	v_mul_lo_u32 v64, v21, v54
	v_add_f16_e32 v41, v41, v63
	v_mul_f16_e32 v63, 0x388b, v29
	v_lshlrev_b32_sdwa v59, v25, v57 dst_sel:DWORD dst_unused:UNUSED_PAD src0_sel:DWORD src1_sel:BYTE_1
	v_bfe_u32 v57, v57, 16, 8
	v_add_f16_e32 v71, v55, v80
	s_clause 0x1
	global_load_dword v55, v73, s[8:9]
	global_load_dword v52, v52, s[8:9]
	v_mul_f16_e32 v65, 0x33a8, v42
	v_fmamk_f16 v58, v27, 0x3a95, v63
	v_lshl_or_b32 v57, v57, 2, 0x800
	v_add_nc_u32_e32 v76, 0x4e, v22
	v_lshlrev_b32_sdwa v74, v25, v64 dst_sel:DWORD dst_unused:UNUSED_PAD src0_sel:DWORD src1_sel:BYTE_0
	v_fma_f16 v56, v31, 0x388b, -v56
	v_fmac_f16_e32 v63, 0xba95, v27
	global_load_dword v54, v59, s[8:9] offset:1024
	v_fmamk_f16 v68, v31, 0xbbc4, v65
	v_add_f16_e32 v75, v58, v82
	s_clause 0x1
	global_load_dword v59, v57, s[8:9]
	global_load_dword v58, v74, s[8:9]
	v_mul_lo_u32 v57, v21, v76
	v_add_f16_e32 v47, v47, v77
	v_add_f16_e32 v77, v56, v83
	v_lshlrev_b32_sdwa v56, v25, v64 dst_sel:DWORD dst_unused:UNUSED_PAD src0_sel:DWORD src1_sel:BYTE_1
	v_add_f16_e32 v74, v63, v84
	v_bfe_u32 v63, v64, 16, 8
	v_add_f16_e32 v76, v68, v53
	v_add_nc_u32_e32 v53, 0x5b, v22
	global_load_dword v68, v56, s[8:9] offset:1024
	v_add_nc_u32_e32 v82, 0x68, v22
	v_lshl_or_b32 v56, v63, 2, 0x800
	v_lshlrev_b32_sdwa v63, v25, v57 dst_sel:DWORD dst_unused:UNUSED_PAD src0_sel:DWORD src1_sel:BYTE_0
	v_mul_lo_u32 v79, v21, v53
	v_bfe_u32 v53, v57, 16, 8
	v_lshlrev_b32_sdwa v57, v25, v57 dst_sel:DWORD dst_unused:UNUSED_PAD src0_sel:DWORD src1_sel:BYTE_1
	s_clause 0x1
	global_load_dword v64, v56, s[8:9]
	global_load_dword v63, v63, s[8:9]
	v_fma_f16 v81, v31, 0xbbc4, -v65
	v_add_nc_u32_e32 v83, 0x75, v22
	v_lshl_or_b32 v53, v53, 2, 0x800
	global_load_dword v57, v57, s[8:9] offset:1024
	v_lshlrev_b32_sdwa v56, v25, v79 dst_sel:DWORD dst_unused:UNUSED_PAD src0_sel:DWORD src1_sel:BYTE_0
	v_lshlrev_b32_sdwa v65, v25, v79 dst_sel:DWORD dst_unused:UNUSED_PAD src0_sel:DWORD src1_sel:BYTE_1
	s_clause 0x1
	global_load_dword v53, v53, s[8:9]
	global_load_dword v56, v56, s[8:9]
	v_mul_lo_u32 v82, v21, v82
	v_bfe_u32 v79, v79, 16, 8
	global_load_dword v65, v65, s[8:9] offset:1024
	v_mul_lo_u32 v83, v21, v83
	v_add_f16_e32 v61, v81, v61
	v_add_nc_u32_e32 v81, 0x82, v22
	v_lshl_or_b32 v79, v79, 2, 0x800
	v_mul_f16_e32 v73, 0xbbc4, v29
	v_lshlrev_b32_sdwa v85, v25, v82 dst_sel:DWORD dst_unused:UNUSED_PAD src0_sel:DWORD src1_sel:BYTE_0
	v_lshlrev_b32_sdwa v86, v25, v82 dst_sel:DWORD dst_unused:UNUSED_PAD src0_sel:DWORD src1_sel:BYTE_1
	v_mul_lo_u32 v81, v21, v81
	global_load_dword v79, v79, s[8:9]
	v_lshlrev_b32_sdwa v87, v25, v83 dst_sel:DWORD dst_unused:UNUSED_PAD src0_sel:DWORD src1_sel:BYTE_0
	s_clause 0x1
	global_load_dword v85, v85, s[8:9]
	global_load_dword v86, v86, s[8:9] offset:1024
	v_bfe_u32 v88, v83, 16, 8
	v_bfe_u32 v82, v82, 16, 8
	v_lshlrev_b32_sdwa v83, v25, v83 dst_sel:DWORD dst_unused:UNUSED_PAD src0_sel:DWORD src1_sel:BYTE_1
	global_load_dword v87, v87, s[8:9]
	v_lshlrev_b32_sdwa v89, v25, v81 dst_sel:DWORD dst_unused:UNUSED_PAD src0_sel:DWORD src1_sel:BYTE_0
	v_lshl_or_b32 v88, v88, 2, 0x800
	v_lshlrev_b32_sdwa v91, v25, v81 dst_sel:DWORD dst_unused:UNUSED_PAD src0_sel:DWORD src1_sel:BYTE_1
	v_lshl_or_b32 v82, v82, 2, 0x800
	v_add_nc_u32_e32 v22, 0x9c, v22
	s_clause 0x4
	global_load_dword v83, v83, s[8:9] offset:1024
	global_load_dword v88, v88, s[8:9]
	global_load_dword v89, v89, s[8:9]
	global_load_dword v91, v91, s[8:9] offset:1024
	global_load_dword v82, v82, s[8:9]
	v_fmamk_f16 v78, v27, 0xb3a8, v73
	v_mul_f16_e32 v80, 0x3770, v42
	v_mul_f16_e32 v84, 0x3b15, v29
	v_mul_lo_u32 v21, v21, v22
	v_fmac_f16_e32 v73, 0x33a8, v27
	v_add_f16_e32 v60, v78, v60
	v_fmamk_f16 v78, v31, 0x3b15, v80
	v_fmamk_f16 v22, v27, 0xb770, v84
	v_bfe_u32 v81, v81, 16, 8
	v_add_f16_e32 v49, v73, v49
	v_fma_f16 v80, v31, 0x3b15, -v80
	v_add_f16_e32 v50, v78, v50
	v_add_f16_e32 v22, v22, v51
	v_lshlrev_b32_sdwa v51, v25, v90 dst_sel:DWORD dst_unused:UNUSED_PAD src0_sel:DWORD src1_sel:BYTE_0
	v_lshlrev_b32_sdwa v73, v25, v21 dst_sel:DWORD dst_unused:UNUSED_PAD src0_sel:DWORD src1_sel:BYTE_0
	v_lshlrev_b32_sdwa v78, v25, v90 dst_sel:DWORD dst_unused:UNUSED_PAD src0_sel:DWORD src1_sel:BYTE_1
	v_lshlrev_b32_sdwa v25, v25, v21 dst_sel:DWORD dst_unused:UNUSED_PAD src0_sel:DWORD src1_sel:BYTE_1
	v_bfe_u32 v21, v21, 16, 8
	v_bfe_u32 v90, v90, 16, 8
	v_lshl_or_b32 v81, v81, 2, 0x800
	v_mul_f16_e32 v42, 0xbb7b, v42
	v_fmac_f16_e32 v84, 0x3770, v27
	v_lshl_or_b32 v21, v21, 2, 0x800
	v_lshl_or_b32 v90, v90, 2, 0x800
	s_clause 0x6
	global_load_dword v78, v78, s[8:9] offset:1024
	global_load_dword v25, v25, s[8:9] offset:1024
	global_load_dword v21, v21, s[8:9]
	global_load_dword v90, v90, s[8:9]
	global_load_dword v51, v51, s[8:9]
	global_load_dword v81, v81, s[8:9]
	global_load_dword v73, v73, s[8:9]
	v_add_f16_e32 v30, v80, v30
	v_fmamk_f16 v80, v31, 0xb5ac, v42
	v_add_f16_e32 v40, v84, v40
	v_sub_f16_e32 v84, v2, v3
	v_mul_f16_e32 v29, 0xb5ac, v29
	v_add_f16_e32 v2, v2, v3
	v_add_f16_e32 v41, v80, v41
	;; [unrolled: 1-line block ×3, first 2 shown]
	v_mul_f16_e32 v3, 0xb3a8, v84
	v_fma_f16 v31, v31, 0xb5ac, -v42
	v_fmamk_f16 v42, v27, 0x3b7b, v29
	v_fmac_f16_e32 v29, 0xbb7b, v27
	v_sub_f16_e32 v0, v0, v1
	v_mul_f16_e32 v1, 0xbbc4, v2
	v_fmamk_f16 v27, v80, 0xbbc4, v3
	v_add_f16_e32 v26, v42, v26
	v_add_f16_e32 v31, v31, v43
	v_fma_f16 v3, v80, 0xbbc4, -v3
	v_fmamk_f16 v42, v0, 0x33a8, v1
	v_add_f16_e32 v27, v27, v28
	v_mul_f16_e32 v28, 0x3770, v84
	v_fmac_f16_e32 v1, 0xb3a8, v0
	v_mul_f16_e32 v43, 0x3b15, v2
	v_add_f16_e32 v29, v29, v44
	v_add_f16_e32 v3, v3, v45
	v_fmamk_f16 v44, v80, 0x3b15, v28
	v_add_f16_e32 v1, v1, v46
	v_mul_f16_e32 v45, 0xb94e, v84
	v_fmamk_f16 v46, v0, 0xb770, v43
	v_add_f16_e32 v42, v42, v48
	v_add_f16_e32 v44, v44, v47
	v_fma_f16 v28, v80, 0x3b15, -v28
	v_fmac_f16_e32 v43, 0x3770, v0
	v_fmamk_f16 v47, v80, 0xb9fd, v45
	v_add_f16_e32 v46, v46, v69
	v_mul_f16_e32 v48, 0xb9fd, v2
	v_mul_f16_e32 v69, 0x3a95, v84
	v_add_f16_e32 v28, v28, v70
	v_add_f16_e32 v43, v43, v71
	;; [unrolled: 1-line block ×3, first 2 shown]
	v_fmamk_f16 v70, v0, 0x394e, v48
	v_fmac_f16_e32 v48, 0xb94e, v0
	v_mul_f16_e32 v71, 0x388b, v2
	v_fmamk_f16 v72, v80, 0x388b, v69
	v_fma_f16 v69, v80, 0x388b, -v69
	v_add_f16_e32 v70, v70, v75
	v_add_f16_e32 v48, v48, v74
	v_fmamk_f16 v74, v0, 0xba95, v71
	v_mul_f16_e32 v75, 0xbb7b, v84
	v_fmac_f16_e32 v71, 0x3a95, v0
	v_add_f16_e32 v61, v69, v61
	v_fma_f16 v45, v80, 0xb9fd, -v45
	v_add_f16_e32 v60, v74, v60
	v_fmamk_f16 v74, v80, 0xb5ac, v75
	v_add_f16_e32 v49, v71, v49
	v_add_f16_e32 v72, v72, v76
	v_mul_f16_e32 v76, 0xb5ac, v2
	v_add_f16_e32 v45, v45, v77
	v_add_f16_e32 v50, v74, v50
	v_fma_f16 v74, v80, 0xb5ac, -v75
	v_mul_f16_e32 v2, 0x2fb7, v2
	v_fmamk_f16 v77, v0, 0x3b7b, v76
	v_fmac_f16_e32 v76, 0xbb7b, v0
	s_waitcnt vmcnt(0)
	v_add_f16_e32 v30, v74, v30
	s_barrier
	v_add_f16_e32 v22, v77, v22
	v_add_f16_e32 v40, v76, v40
	v_mul_f16_e32 v77, 0x3bf1, v84
	buffer_gl0_inv
	v_lshrrev_b32_e32 v69, 16, v39
	v_mul_f16_sdwa v75, v39, v38 dst_sel:DWORD dst_unused:UNUSED_PAD src0_sel:DWORD src1_sel:WORD_1
	v_mul_f16_sdwa v71, v69, v38 dst_sel:DWORD dst_unused:UNUSED_PAD src0_sel:DWORD src1_sel:WORD_1
	v_fmac_f16_e32 v75, v69, v38
	v_fmamk_f16 v69, v80, 0x2fb7, v77
	v_fma_f16 v39, v39, v38, -v71
	v_lshrrev_b32_e32 v71, 16, v37
	v_mul_f16_sdwa v76, v75, v35 dst_sel:DWORD dst_unused:UNUSED_PAD src0_sel:DWORD src1_sel:WORD_1
	v_add_f16_e32 v41, v69, v41
	v_fmamk_f16 v69, v0, 0xbbf1, v2
	v_mul_f16_sdwa v38, v39, v35 dst_sel:DWORD dst_unused:UNUSED_PAD src0_sel:DWORD src1_sel:WORD_1
	v_mul_f16_sdwa v74, v71, v36 dst_sel:DWORD dst_unused:UNUSED_PAD src0_sel:DWORD src1_sel:WORD_1
	v_fmac_f16_e32 v2, 0x3bf1, v0
	v_add_f16_e32 v26, v69, v26
	v_fmac_f16_e32 v38, v35, v75
	v_mul_f16_sdwa v75, v37, v36 dst_sel:DWORD dst_unused:UNUSED_PAD src0_sel:DWORD src1_sel:WORD_1
	v_fma_f16 v37, v37, v36, -v74
	v_lshrrev_b32_e32 v74, 16, v34
	v_fma_f16 v35, v35, v39, -v76
	v_mul_f16_e32 v39, v23, v38
	v_fmac_f16_e32 v75, v71, v36
	v_mul_f16_sdwa v36, v37, v32 dst_sel:DWORD dst_unused:UNUSED_PAD src0_sel:DWORD src1_sel:WORD_1
	v_mul_f16_sdwa v71, v74, v33 dst_sel:DWORD dst_unused:UNUSED_PAD src0_sel:DWORD src1_sel:WORD_1
	v_mul_f16_e32 v38, v24, v38
	v_fmac_f16_e32 v39, v24, v35
	v_mul_f16_sdwa v76, v75, v32 dst_sel:DWORD dst_unused:UNUSED_PAD src0_sel:DWORD src1_sel:WORD_1
	v_fmac_f16_e32 v36, v32, v75
	v_mul_f16_sdwa v75, v34, v33 dst_sel:DWORD dst_unused:UNUSED_PAD src0_sel:DWORD src1_sel:WORD_1
	v_fma_f16 v34, v34, v33, -v71
	v_fma_f16 v23, v23, v35, -v38
	;; [unrolled: 1-line block ×3, first 2 shown]
	v_mul_f16_e32 v37, v42, v36
	v_fmac_f16_e32 v75, v74, v33
	v_add_f16_e32 v2, v2, v29
	v_fmac_f16_e32 v37, v27, v32
	v_mul_f16_e32 v27, v27, v36
	v_fma_f16 v27, v42, v32, -v27
	v_fma_f16 v42, v80, 0x2fb7, -v77
	v_add_f16_e32 v31, v42, v31
	v_mul_f16_sdwa v24, v34, v62 dst_sel:DWORD dst_unused:UNUSED_PAD src0_sel:DWORD src1_sel:WORD_1
	v_mul_f16_sdwa v33, v75, v62 dst_sel:DWORD dst_unused:UNUSED_PAD src0_sel:DWORD src1_sel:WORD_1
	v_lshrrev_b32_e32 v35, 16, v66
	v_mul_f16_sdwa v38, v66, v67 dst_sel:DWORD dst_unused:UNUSED_PAD src0_sel:DWORD src1_sel:WORD_1
	v_fmac_f16_e32 v24, v62, v75
	v_fma_f16 v33, v62, v34, -v33
	v_mul_f16_sdwa v34, v35, v67 dst_sel:DWORD dst_unused:UNUSED_PAD src0_sel:DWORD src1_sel:WORD_1
	v_fmac_f16_e32 v38, v35, v67
	v_mul_f16_e32 v36, v46, v24
	v_mul_f16_e32 v24, v44, v24
	v_fma_f16 v32, v66, v67, -v34
	v_fmac_f16_e32 v36, v44, v33
	v_mul_f16_sdwa v34, v38, v55 dst_sel:DWORD dst_unused:UNUSED_PAD src0_sel:DWORD src1_sel:WORD_1
	v_lshrrev_b32_e32 v35, 16, v52
	v_fma_f16 v24, v46, v33, -v24
	v_mul_f16_sdwa v33, v32, v55 dst_sel:DWORD dst_unused:UNUSED_PAD src0_sel:DWORD src1_sel:WORD_1
	v_fma_f16 v32, v55, v32, -v34
	v_fmac_f16_e32 v33, v55, v38
	v_mul_f16_sdwa v34, v35, v54 dst_sel:DWORD dst_unused:UNUSED_PAD src0_sel:DWORD src1_sel:WORD_1
	v_mul_f16_sdwa v0, v52, v54 dst_sel:DWORD dst_unused:UNUSED_PAD src0_sel:DWORD src1_sel:WORD_1
	v_lshrrev_b32_e32 v29, 16, v58
	v_mul_f16_e32 v38, v70, v33
	v_fma_f16 v34, v52, v54, -v34
	v_fmac_f16_e32 v0, v35, v54
	v_mul_f16_e32 v33, v47, v33
	v_fmac_f16_e32 v38, v47, v32
	v_mul_f16_sdwa v35, v34, v59 dst_sel:DWORD dst_unused:UNUSED_PAD src0_sel:DWORD src1_sel:WORD_1
	v_mul_f16_sdwa v42, v0, v59 dst_sel:DWORD dst_unused:UNUSED_PAD src0_sel:DWORD src1_sel:WORD_1
	;; [unrolled: 1-line block ×4, first 2 shown]
	v_fma_f16 v32, v70, v32, -v33
	v_fmac_f16_e32 v35, v59, v0
	v_fma_f16 v0, v59, v34, -v42
	v_fma_f16 v34, v58, v68, -v44
	v_fmac_f16_e32 v46, v29, v68
	v_lshrrev_b32_e32 v33, 16, v63
	v_mul_f16_e32 v29, v60, v35
	v_mul_f16_e32 v35, v72, v35
	v_mul_f16_sdwa v42, v34, v64 dst_sel:DWORD dst_unused:UNUSED_PAD src0_sel:DWORD src1_sel:WORD_1
	v_mul_f16_sdwa v44, v46, v64 dst_sel:DWORD dst_unused:UNUSED_PAD src0_sel:DWORD src1_sel:WORD_1
	;; [unrolled: 1-line block ×3, first 2 shown]
	v_fmac_f16_e32 v29, v72, v0
	v_fma_f16 v0, v60, v0, -v35
	v_fmac_f16_e32 v42, v64, v46
	v_fma_f16 v34, v64, v34, -v44
	v_lshrrev_b32_e32 v44, 16, v56
	v_mul_f16_sdwa v46, v63, v57 dst_sel:DWORD dst_unused:UNUSED_PAD src0_sel:DWORD src1_sel:WORD_1
	v_fma_f16 v47, v63, v57, -v47
	v_mul_f16_e32 v52, v22, v42
	v_mul_f16_sdwa v54, v56, v65 dst_sel:DWORD dst_unused:UNUSED_PAD src0_sel:DWORD src1_sel:WORD_1
	v_mul_f16_sdwa v35, v44, v65 dst_sel:DWORD dst_unused:UNUSED_PAD src0_sel:DWORD src1_sel:WORD_1
	v_fmac_f16_e32 v46, v33, v57
	v_mul_f16_sdwa v33, v47, v53 dst_sel:DWORD dst_unused:UNUSED_PAD src0_sel:DWORD src1_sel:WORD_1
	v_mul_f16_e32 v42, v50, v42
	v_fmac_f16_e32 v54, v44, v65
	v_fma_f16 v35, v56, v65, -v35
	v_mul_f16_sdwa v55, v46, v53 dst_sel:DWORD dst_unused:UNUSED_PAD src0_sel:DWORD src1_sel:WORD_1
	v_fmac_f16_e32 v33, v53, v46
	v_fma_f16 v22, v22, v34, -v42
	v_lshrrev_b32_e32 v42, 16, v85
	v_mul_f16_sdwa v44, v35, v79 dst_sel:DWORD dst_unused:UNUSED_PAD src0_sel:DWORD src1_sel:WORD_1
	v_fma_f16 v46, v53, v47, -v55
	v_mul_f16_e32 v47, v26, v33
	v_fmac_f16_e32 v52, v50, v34
	v_mul_f16_sdwa v34, v54, v79 dst_sel:DWORD dst_unused:UNUSED_PAD src0_sel:DWORD src1_sel:WORD_1
	v_fmac_f16_e32 v44, v79, v54
	v_mul_f16_e32 v33, v41, v33
	v_fmac_f16_e32 v47, v41, v46
	v_mul_f16_sdwa v41, v42, v86 dst_sel:DWORD dst_unused:UNUSED_PAD src0_sel:DWORD src1_sel:WORD_1
	v_lshrrev_b32_e32 v50, 16, v87
	v_fma_f16 v34, v79, v35, -v34
	v_mul_f16_e32 v35, v2, v44
	v_mul_f16_sdwa v53, v85, v86 dst_sel:DWORD dst_unused:UNUSED_PAD src0_sel:DWORD src1_sel:WORD_1
	v_fma_f16 v26, v26, v46, -v33
	v_fma_f16 v33, v85, v86, -v41
	v_mul_f16_sdwa v41, v50, v83 dst_sel:DWORD dst_unused:UNUSED_PAD src0_sel:DWORD src1_sel:WORD_1
	v_fmac_f16_e32 v35, v31, v34
	v_fmac_f16_e32 v53, v42, v86
	v_mul_f16_sdwa v42, v87, v83 dst_sel:DWORD dst_unused:UNUSED_PAD src0_sel:DWORD src1_sel:WORD_1
	v_mul_f16_e32 v31, v31, v44
	v_mul_f16_sdwa v44, v33, v82 dst_sel:DWORD dst_unused:UNUSED_PAD src0_sel:DWORD src1_sel:WORD_1
	v_fma_f16 v41, v87, v83, -v41
	v_mul_f16_sdwa v46, v53, v82 dst_sel:DWORD dst_unused:UNUSED_PAD src0_sel:DWORD src1_sel:WORD_1
	v_fmac_f16_e32 v42, v50, v83
	v_fma_f16 v2, v2, v34, -v31
	v_fmac_f16_e32 v44, v82, v53
	v_mul_f16_sdwa v31, v41, v88 dst_sel:DWORD dst_unused:UNUSED_PAD src0_sel:DWORD src1_sel:WORD_1
	v_fma_f16 v33, v82, v33, -v46
	v_mul_f16_sdwa v34, v42, v88 dst_sel:DWORD dst_unused:UNUSED_PAD src0_sel:DWORD src1_sel:WORD_1
	v_lshrrev_b32_e32 v46, 16, v89
	v_mul_f16_e32 v50, v40, v44
	v_fmac_f16_e32 v31, v88, v42
	v_mul_f16_e32 v42, v30, v44
	v_mul_f16_sdwa v44, v89, v91 dst_sel:DWORD dst_unused:UNUSED_PAD src0_sel:DWORD src1_sel:WORD_1
	v_fma_f16 v34, v88, v41, -v34
	v_mul_f16_sdwa v41, v46, v91 dst_sel:DWORD dst_unused:UNUSED_PAD src0_sel:DWORD src1_sel:WORD_1
	v_mul_f16_e32 v53, v49, v31
	v_fmac_f16_e32 v50, v30, v33
	v_fmac_f16_e32 v44, v46, v91
	v_fma_f16 v30, v40, v33, -v42
	v_fma_f16 v33, v89, v91, -v41
	v_mul_f16_e32 v31, v61, v31
	v_lshrrev_b32_e32 v40, 16, v51
	v_mul_f16_sdwa v42, v44, v81 dst_sel:DWORD dst_unused:UNUSED_PAD src0_sel:DWORD src1_sel:WORD_1
	v_lshrrev_b32_e32 v46, 16, v73
	v_fmac_f16_e32 v53, v61, v34
	v_mul_f16_sdwa v41, v33, v81 dst_sel:DWORD dst_unused:UNUSED_PAD src0_sel:DWORD src1_sel:WORD_1
	v_fma_f16 v31, v49, v34, -v31
	v_mul_f16_sdwa v34, v40, v78 dst_sel:DWORD dst_unused:UNUSED_PAD src0_sel:DWORD src1_sel:WORD_1
	v_fma_f16 v33, v81, v33, -v42
	v_mul_f16_sdwa v42, v46, v25 dst_sel:DWORD dst_unused:UNUSED_PAD src0_sel:DWORD src1_sel:WORD_1
	v_fmac_f16_e32 v41, v81, v44
	v_mul_f16_sdwa v44, v51, v78 dst_sel:DWORD dst_unused:UNUSED_PAD src0_sel:DWORD src1_sel:WORD_1
	v_fma_f16 v34, v51, v78, -v34
	v_mul_f16_sdwa v51, v73, v25 dst_sel:DWORD dst_unused:UNUSED_PAD src0_sel:DWORD src1_sel:WORD_1
	v_fma_f16 v42, v73, v25, -v42
	v_mul_f16_e32 v49, v48, v41
	v_fmac_f16_e32 v44, v40, v78
	v_mul_f16_sdwa v40, v34, v90 dst_sel:DWORD dst_unused:UNUSED_PAD src0_sel:DWORD src1_sel:WORD_1
	v_fmac_f16_e32 v51, v46, v25
	v_mul_f16_sdwa v25, v42, v21 dst_sel:DWORD dst_unused:UNUSED_PAD src0_sel:DWORD src1_sel:WORD_1
	;; [unrolled: 2-line block ×4, first 2 shown]
	v_fmac_f16_e32 v25, v21, v51
	v_mul_f16_e32 v41, v45, v41
	v_fma_f16 v34, v90, v34, -v46
	v_mul_f16_e32 v45, v43, v40
	v_fma_f16 v21, v21, v42, -v44
	v_mul_f16_e32 v42, v1, v25
	v_mul_f16_e32 v25, v3, v25
	;; [unrolled: 1-line block ×3, first 2 shown]
	v_fma_f16 v33, v48, v33, -v41
	v_fmac_f16_e32 v45, v28, v34
	v_fmac_f16_e32 v42, v3, v21
	v_fma_f16 v1, v1, v21, -v25
	v_pack_b32_f16 v3, v39, v23
	v_pack_b32_f16 v21, v37, v27
	;; [unrolled: 1-line block ×4, first 2 shown]
	v_fma_f16 v28, v43, v34, -v40
	ds_write2_b32 v20, v3, v21 offset1:13
	ds_write2_b32 v20, v23, v24 offset0:26 offset1:39
	v_pack_b32_f16 v0, v29, v0
	v_pack_b32_f16 v3, v52, v22
	;; [unrolled: 1-line block ×9, first 2 shown]
	ds_write2_b32 v20, v0, v3 offset0:52 offset1:65
	ds_write2_b32 v20, v21, v2 offset0:78 offset1:91
	;; [unrolled: 1-line block ×4, first 2 shown]
	ds_write_b32 v20, v1 offset:624
	s_waitcnt lgkmcnt(0)
	s_barrier
	buffer_gl0_inv
	s_and_saveexec_b32 s8, s10
	s_cbranch_execz .LBB0_16
; %bb.15:
	v_mad_u64_u32 v[0:1], null, s2, v18, 0
	v_mad_u64_u32 v[2:3], null, s0, v16, 0
	v_add3_u32 v25, 0, v19, v17
	s_lshl_b64 s[6:7], s[6:7], 2
	s_add_u32 s2, s4, s6
	v_mad_u64_u32 v[17:18], null, s3, v18, v[1:2]
	v_mad_u64_u32 v[20:21], null, s1, v16, v[3:4]
	;; [unrolled: 1-line block ×4, first 2 shown]
	v_mov_b32_e32 v1, v17
	ds_read2_b32 v[16:17], v25 offset1:13
	v_mov_b32_e32 v3, v20
	s_addc_u32 s3, s5, s7
	v_mov_b32_e32 v20, v22
	v_lshlrev_b64 v[0:1], 2, v[0:1]
	v_lshlrev_b64 v[2:3], 2, v[2:3]
	v_mad_u64_u32 v[22:23], null, s1, v15, v[19:20]
	v_add_co_u32 v26, vcc_lo, s2, v0
	v_add_co_ci_u32_e32 v27, vcc_lo, s3, v1, vcc_lo
	v_mad_u64_u32 v[0:1], null, s1, v14, v[20:21]
	v_add_co_u32 v1, vcc_lo, v26, v2
	v_mad_u64_u32 v[14:15], null, s0, v13, 0
	v_add_co_ci_u32_e32 v2, vcc_lo, v27, v3, vcc_lo
	v_mov_b32_e32 v19, v22
	v_mad_u64_u32 v[23:24], null, s0, v12, 0
	s_waitcnt lgkmcnt(0)
	global_store_dword v[1:2], v16, off
	v_mov_b32_e32 v22, v0
	v_lshlrev_b64 v[1:2], 2, v[18:19]
	ds_read2_b32 v[18:19], v25 offset0:26 offset1:39
	v_mov_b32_e32 v0, v15
                                        ; kill: def $vgpr3 killed $sgpr0 killed $exec
	v_lshlrev_b64 v[15:16], 2, v[21:22]
	v_mad_u64_u32 v[20:21], null, s1, v13, v[0:1]
	v_add_co_u32 v0, vcc_lo, v26, v1
	v_add_co_ci_u32_e32 v1, vcc_lo, v27, v2, vcc_lo
	v_mov_b32_e32 v2, v24
	v_add_co_u32 v21, vcc_lo, v26, v15
	v_mov_b32_e32 v15, v20
	v_add_co_ci_u32_e32 v22, vcc_lo, v27, v16, vcc_lo
	v_mad_u64_u32 v[2:3], null, s1, v12, v[2:3]
	v_mad_u64_u32 v[12:13], null, s0, v11, 0
	global_store_dword v[0:1], v17, off
	s_waitcnt lgkmcnt(0)
	global_store_dword v[21:22], v18, off
	v_lshlrev_b64 v[0:1], 2, v[14:15]
	v_mad_u64_u32 v[14:15], null, s0, v10, 0
	v_mov_b32_e32 v24, v2
	ds_read2_b32 v[2:3], v25 offset0:52 offset1:65
	v_add_co_u32 v0, vcc_lo, v26, v0
	v_lshlrev_b64 v[16:17], 2, v[23:24]
	v_mad_u64_u32 v[20:21], null, s1, v11, v[13:14]
	v_add_co_ci_u32_e32 v1, vcc_lo, v27, v1, vcc_lo
	v_mov_b32_e32 v11, v15
	v_mad_u64_u32 v[21:22], null, s0, v9, 0
	v_add_co_u32 v15, vcc_lo, v26, v16
	v_add_co_ci_u32_e32 v16, vcc_lo, v27, v17, vcc_lo
	v_mov_b32_e32 v13, v20
	global_store_dword v[0:1], v19, off
	v_mov_b32_e32 v0, v22
	v_mad_u64_u32 v[10:11], null, s1, v10, v[11:12]
	s_waitcnt lgkmcnt(0)
	global_store_dword v[15:16], v2, off
	v_lshlrev_b64 v[1:2], 2, v[12:13]
	v_mov_b32_e32 v15, v10
	v_mad_u64_u32 v[11:12], null, s1, v9, v[0:1]
	v_mad_u64_u32 v[9:10], null, s0, v8, 0
	v_add_co_u32 v0, vcc_lo, v26, v1
	v_add_co_ci_u32_e32 v1, vcc_lo, v27, v2, vcc_lo
	v_mov_b32_e32 v22, v11
	ds_read2_b32 v[11:12], v25 offset0:78 offset1:91
	v_lshlrev_b64 v[13:14], 2, v[14:15]
	v_mov_b32_e32 v2, v10
	global_store_dword v[0:1], v3, off
	v_lshlrev_b64 v[0:1], 2, v[21:22]
	v_mad_u64_u32 v[15:16], null, s0, v7, 0
	v_add_co_u32 v13, vcc_lo, v26, v13
	v_mad_u64_u32 v[2:3], null, s1, v8, v[2:3]
	v_add_co_ci_u32_e32 v14, vcc_lo, v27, v14, vcc_lo
	v_add_co_u32 v0, vcc_lo, v26, v0
	v_add_co_ci_u32_e32 v1, vcc_lo, v27, v1, vcc_lo
	v_mov_b32_e32 v10, v2
	s_waitcnt lgkmcnt(0)
	global_store_dword v[13:14], v11, off
	global_store_dword v[0:1], v12, off
	ds_read2_b32 v[0:1], v25 offset0:104 offset1:117
	v_lshlrev_b64 v[2:3], 2, v[9:10]
	v_mad_u64_u32 v[9:10], null, s0, v5, 0
	v_mad_u64_u32 v[11:12], null, s0, v6, 0
	v_mov_b32_e32 v8, v16
	v_mad_u64_u32 v[13:14], null, s0, v4, 0
	v_add_co_u32 v2, vcc_lo, v26, v2
	v_mad_u64_u32 v[7:8], null, s1, v7, v[8:9]
	v_mov_b32_e32 v8, v10
	v_mov_b32_e32 v10, v12
	v_add_co_ci_u32_e32 v3, vcc_lo, v27, v3, vcc_lo
	v_mad_u64_u32 v[17:18], null, s1, v5, v[8:9]
	v_mad_u64_u32 v[5:6], null, s1, v6, v[10:11]
	s_waitcnt lgkmcnt(0)
	global_store_dword v[2:3], v0, off
	v_mov_b32_e32 v0, v14
	v_mov_b32_e32 v16, v7
	ds_read2_b32 v[7:8], v25 offset0:130 offset1:143
	v_mov_b32_e32 v10, v17
	v_mov_b32_e32 v12, v5
	v_mad_u64_u32 v[4:5], null, s1, v4, v[0:1]
	v_lshlrev_b64 v[2:3], 2, v[15:16]
	ds_read_b32 v0, v25 offset:624
	v_lshlrev_b64 v[5:6], 2, v[9:10]
	v_lshlrev_b64 v[9:10], 2, v[11:12]
	v_mov_b32_e32 v14, v4
	v_add_co_u32 v2, vcc_lo, v26, v2
	v_add_co_ci_u32_e32 v3, vcc_lo, v27, v3, vcc_lo
	v_add_co_u32 v4, vcc_lo, v26, v5
	v_lshlrev_b64 v[11:12], 2, v[13:14]
	v_add_co_ci_u32_e32 v5, vcc_lo, v27, v6, vcc_lo
	v_add_co_u32 v9, vcc_lo, v26, v9
	v_add_co_ci_u32_e32 v10, vcc_lo, v27, v10, vcc_lo
	v_add_co_u32 v11, vcc_lo, v26, v11
	v_add_co_ci_u32_e32 v12, vcc_lo, v27, v12, vcc_lo
	global_store_dword v[2:3], v1, off
	s_waitcnt lgkmcnt(1)
	global_store_dword v[4:5], v7, off
	global_store_dword v[9:10], v8, off
	s_waitcnt lgkmcnt(0)
	global_store_dword v[11:12], v0, off
.LBB0_16:
	s_endpgm
	.section	.rodata,"a",@progbits
	.p2align	6, 0x0
	.amdhsa_kernel fft_rtc_back_len169_factors_13_13_wgs_156_tpt_13_half_ip_CI_sbcc_twdbase8_3step
		.amdhsa_group_segment_fixed_size 0
		.amdhsa_private_segment_fixed_size 0
		.amdhsa_kernarg_size 96
		.amdhsa_user_sgpr_count 6
		.amdhsa_user_sgpr_private_segment_buffer 1
		.amdhsa_user_sgpr_dispatch_ptr 0
		.amdhsa_user_sgpr_queue_ptr 0
		.amdhsa_user_sgpr_kernarg_segment_ptr 1
		.amdhsa_user_sgpr_dispatch_id 0
		.amdhsa_user_sgpr_flat_scratch_init 0
		.amdhsa_user_sgpr_private_segment_size 0
		.amdhsa_wavefront_size32 1
		.amdhsa_uses_dynamic_stack 0
		.amdhsa_system_sgpr_private_segment_wavefront_offset 0
		.amdhsa_system_sgpr_workgroup_id_x 1
		.amdhsa_system_sgpr_workgroup_id_y 0
		.amdhsa_system_sgpr_workgroup_id_z 0
		.amdhsa_system_sgpr_workgroup_info 0
		.amdhsa_system_vgpr_workitem_id 0
		.amdhsa_next_free_vgpr 92
		.amdhsa_next_free_sgpr 46
		.amdhsa_reserve_vcc 1
		.amdhsa_reserve_flat_scratch 0
		.amdhsa_float_round_mode_32 0
		.amdhsa_float_round_mode_16_64 0
		.amdhsa_float_denorm_mode_32 3
		.amdhsa_float_denorm_mode_16_64 3
		.amdhsa_dx10_clamp 1
		.amdhsa_ieee_mode 1
		.amdhsa_fp16_overflow 0
		.amdhsa_workgroup_processor_mode 1
		.amdhsa_memory_ordered 1
		.amdhsa_forward_progress 0
		.amdhsa_shared_vgpr_count 0
		.amdhsa_exception_fp_ieee_invalid_op 0
		.amdhsa_exception_fp_denorm_src 0
		.amdhsa_exception_fp_ieee_div_zero 0
		.amdhsa_exception_fp_ieee_overflow 0
		.amdhsa_exception_fp_ieee_underflow 0
		.amdhsa_exception_fp_ieee_inexact 0
		.amdhsa_exception_int_div_zero 0
	.end_amdhsa_kernel
	.text
.Lfunc_end0:
	.size	fft_rtc_back_len169_factors_13_13_wgs_156_tpt_13_half_ip_CI_sbcc_twdbase8_3step, .Lfunc_end0-fft_rtc_back_len169_factors_13_13_wgs_156_tpt_13_half_ip_CI_sbcc_twdbase8_3step
                                        ; -- End function
	.section	.AMDGPU.csdata,"",@progbits
; Kernel info:
; codeLenInByte = 12276
; NumSgprs: 48
; NumVgprs: 92
; ScratchSize: 0
; MemoryBound: 0
; FloatMode: 240
; IeeeMode: 1
; LDSByteSize: 0 bytes/workgroup (compile time only)
; SGPRBlocks: 5
; VGPRBlocks: 11
; NumSGPRsForWavesPerEU: 48
; NumVGPRsForWavesPerEU: 92
; Occupancy: 10
; WaveLimiterHint : 1
; COMPUTE_PGM_RSRC2:SCRATCH_EN: 0
; COMPUTE_PGM_RSRC2:USER_SGPR: 6
; COMPUTE_PGM_RSRC2:TRAP_HANDLER: 0
; COMPUTE_PGM_RSRC2:TGID_X_EN: 1
; COMPUTE_PGM_RSRC2:TGID_Y_EN: 0
; COMPUTE_PGM_RSRC2:TGID_Z_EN: 0
; COMPUTE_PGM_RSRC2:TIDIG_COMP_CNT: 0
	.text
	.p2alignl 6, 3214868480
	.fill 48, 4, 3214868480
	.type	__hip_cuid_ee30cf1593df6bbd,@object ; @__hip_cuid_ee30cf1593df6bbd
	.section	.bss,"aw",@nobits
	.globl	__hip_cuid_ee30cf1593df6bbd
__hip_cuid_ee30cf1593df6bbd:
	.byte	0                               ; 0x0
	.size	__hip_cuid_ee30cf1593df6bbd, 1

	.ident	"AMD clang version 19.0.0git (https://github.com/RadeonOpenCompute/llvm-project roc-6.4.0 25133 c7fe45cf4b819c5991fe208aaa96edf142730f1d)"
	.section	".note.GNU-stack","",@progbits
	.addrsig
	.addrsig_sym __hip_cuid_ee30cf1593df6bbd
	.amdgpu_metadata
---
amdhsa.kernels:
  - .args:
      - .actual_access:  read_only
        .address_space:  global
        .offset:         0
        .size:           8
        .value_kind:     global_buffer
      - .address_space:  global
        .offset:         8
        .size:           8
        .value_kind:     global_buffer
      - .offset:         16
        .size:           8
        .value_kind:     by_value
      - .actual_access:  read_only
        .address_space:  global
        .offset:         24
        .size:           8
        .value_kind:     global_buffer
      - .actual_access:  read_only
        .address_space:  global
        .offset:         32
        .size:           8
        .value_kind:     global_buffer
      - .offset:         40
        .size:           8
        .value_kind:     by_value
      - .actual_access:  read_only
        .address_space:  global
        .offset:         48
        .size:           8
        .value_kind:     global_buffer
      - .actual_access:  read_only
        .address_space:  global
        .offset:         56
        .size:           8
        .value_kind:     global_buffer
      - .offset:         64
        .size:           4
        .value_kind:     by_value
      - .actual_access:  read_only
        .address_space:  global
        .offset:         72
        .size:           8
        .value_kind:     global_buffer
      - .actual_access:  read_only
        .address_space:  global
        .offset:         80
        .size:           8
        .value_kind:     global_buffer
      - .address_space:  global
        .offset:         88
        .size:           8
        .value_kind:     global_buffer
    .group_segment_fixed_size: 0
    .kernarg_segment_align: 8
    .kernarg_segment_size: 96
    .language:       OpenCL C
    .language_version:
      - 2
      - 0
    .max_flat_workgroup_size: 156
    .name:           fft_rtc_back_len169_factors_13_13_wgs_156_tpt_13_half_ip_CI_sbcc_twdbase8_3step
    .private_segment_fixed_size: 0
    .sgpr_count:     48
    .sgpr_spill_count: 0
    .symbol:         fft_rtc_back_len169_factors_13_13_wgs_156_tpt_13_half_ip_CI_sbcc_twdbase8_3step.kd
    .uniform_work_group_size: 1
    .uses_dynamic_stack: false
    .vgpr_count:     92
    .vgpr_spill_count: 0
    .wavefront_size: 32
    .workgroup_processor_mode: 1
amdhsa.target:   amdgcn-amd-amdhsa--gfx1030
amdhsa.version:
  - 1
  - 2
...

	.end_amdgpu_metadata
